;; amdgpu-corpus repo=ROCm/rocFFT kind=compiled arch=gfx950 opt=O3
	.text
	.amdgcn_target "amdgcn-amd-amdhsa--gfx950"
	.amdhsa_code_object_version 6
	.protected	fft_rtc_fwd_len1573_factors_13_11_11_wgs_143_tpt_143_dp_ip_CI_sbrr_dirReg ; -- Begin function fft_rtc_fwd_len1573_factors_13_11_11_wgs_143_tpt_143_dp_ip_CI_sbrr_dirReg
	.globl	fft_rtc_fwd_len1573_factors_13_11_11_wgs_143_tpt_143_dp_ip_CI_sbrr_dirReg
	.p2align	8
	.type	fft_rtc_fwd_len1573_factors_13_11_11_wgs_143_tpt_143_dp_ip_CI_sbrr_dirReg,@function
fft_rtc_fwd_len1573_factors_13_11_11_wgs_143_tpt_143_dp_ip_CI_sbrr_dirReg: ; @fft_rtc_fwd_len1573_factors_13_11_11_wgs_143_tpt_143_dp_ip_CI_sbrr_dirReg
; %bb.0:
	s_load_dwordx2 s[12:13], s[0:1], 0x18
	s_load_dwordx4 s[4:7], s[0:1], 0x0
	s_load_dwordx2 s[10:11], s[0:1], 0x50
	v_mul_u32_u24_e32 v1, 0x1cb, v0
	v_add_u32_sdwa v6, s2, v1 dst_sel:DWORD dst_unused:UNUSED_PAD src0_sel:DWORD src1_sel:WORD_1
	s_waitcnt lgkmcnt(0)
	s_load_dwordx2 s[8:9], s[12:13], 0x0
	v_mov_b32_e32 v4, 0
	v_cmp_lt_u64_e64 s[2:3], s[6:7], 2
	v_mov_b32_e32 v7, v4
	s_and_b64 vcc, exec, s[2:3]
	v_mov_b64_e32 v[2:3], 0
	s_cbranch_vccnz .LBB0_8
; %bb.1:
	s_load_dwordx2 s[2:3], s[0:1], 0x10
	s_add_u32 s14, s12, 8
	s_addc_u32 s15, s13, 0
	s_mov_b64 s[16:17], 1
	v_mov_b64_e32 v[2:3], 0
	s_waitcnt lgkmcnt(0)
	s_add_u32 s18, s2, 8
	s_addc_u32 s19, s3, 0
.LBB0_2:                                ; =>This Inner Loop Header: Depth=1
	s_load_dwordx2 s[20:21], s[18:19], 0x0
                                        ; implicit-def: $vgpr8_vgpr9
	s_waitcnt lgkmcnt(0)
	v_or_b32_e32 v5, s21, v7
	v_cmp_ne_u64_e32 vcc, 0, v[4:5]
	s_and_saveexec_b64 s[2:3], vcc
	s_xor_b64 s[22:23], exec, s[2:3]
	s_cbranch_execz .LBB0_4
; %bb.3:                                ;   in Loop: Header=BB0_2 Depth=1
	v_cvt_f32_u32_e32 v1, s20
	v_cvt_f32_u32_e32 v5, s21
	s_sub_u32 s2, 0, s20
	s_subb_u32 s3, 0, s21
	v_fmac_f32_e32 v1, 0x4f800000, v5
	v_rcp_f32_e32 v1, v1
	s_nop 0
	v_mul_f32_e32 v1, 0x5f7ffffc, v1
	v_mul_f32_e32 v5, 0x2f800000, v1
	v_trunc_f32_e32 v5, v5
	v_fmac_f32_e32 v1, 0xcf800000, v5
	v_cvt_u32_f32_e32 v5, v5
	v_cvt_u32_f32_e32 v1, v1
	v_mul_lo_u32 v8, s2, v5
	v_mul_hi_u32 v10, s2, v1
	v_mul_lo_u32 v9, s3, v1
	v_add_u32_e32 v10, v10, v8
	v_mul_lo_u32 v12, s2, v1
	v_add_u32_e32 v13, v10, v9
	v_mul_hi_u32 v8, v1, v12
	v_mul_hi_u32 v11, v1, v13
	v_mul_lo_u32 v10, v1, v13
	v_mov_b32_e32 v9, v4
	v_lshl_add_u64 v[8:9], v[8:9], 0, v[10:11]
	v_mul_hi_u32 v11, v5, v12
	v_mul_lo_u32 v12, v5, v12
	v_add_co_u32_e32 v8, vcc, v8, v12
	v_mul_hi_u32 v10, v5, v13
	s_nop 0
	v_addc_co_u32_e32 v8, vcc, v9, v11, vcc
	v_mov_b32_e32 v9, v4
	s_nop 0
	v_addc_co_u32_e32 v11, vcc, 0, v10, vcc
	v_mul_lo_u32 v10, v5, v13
	v_lshl_add_u64 v[8:9], v[8:9], 0, v[10:11]
	v_add_co_u32_e32 v1, vcc, v1, v8
	v_mul_lo_u32 v10, s2, v1
	s_nop 0
	v_addc_co_u32_e32 v5, vcc, v5, v9, vcc
	v_mul_lo_u32 v8, s2, v5
	v_mul_hi_u32 v9, s2, v1
	v_add_u32_e32 v8, v9, v8
	v_mul_lo_u32 v9, s3, v1
	v_add_u32_e32 v12, v8, v9
	v_mul_hi_u32 v14, v5, v10
	v_mul_lo_u32 v15, v5, v10
	v_mul_hi_u32 v9, v1, v12
	v_mul_lo_u32 v8, v1, v12
	v_mul_hi_u32 v10, v1, v10
	v_mov_b32_e32 v11, v4
	v_lshl_add_u64 v[8:9], v[10:11], 0, v[8:9]
	v_add_co_u32_e32 v8, vcc, v8, v15
	v_mul_hi_u32 v13, v5, v12
	s_nop 0
	v_addc_co_u32_e32 v8, vcc, v9, v14, vcc
	v_mul_lo_u32 v10, v5, v12
	s_nop 0
	v_addc_co_u32_e32 v11, vcc, 0, v13, vcc
	v_mov_b32_e32 v9, v4
	v_lshl_add_u64 v[8:9], v[8:9], 0, v[10:11]
	v_add_co_u32_e32 v1, vcc, v1, v8
	v_mul_hi_u32 v10, v6, v1
	s_nop 0
	v_addc_co_u32_e32 v5, vcc, v5, v9, vcc
	v_mad_u64_u32 v[8:9], s[2:3], v6, v5, 0
	v_mov_b32_e32 v11, v4
	v_lshl_add_u64 v[8:9], v[10:11], 0, v[8:9]
	v_mad_u64_u32 v[12:13], s[2:3], v7, v1, 0
	v_add_co_u32_e32 v1, vcc, v8, v12
	v_mad_u64_u32 v[10:11], s[2:3], v7, v5, 0
	s_nop 0
	v_addc_co_u32_e32 v8, vcc, v9, v13, vcc
	v_mov_b32_e32 v9, v4
	s_nop 0
	v_addc_co_u32_e32 v11, vcc, 0, v11, vcc
	v_lshl_add_u64 v[8:9], v[8:9], 0, v[10:11]
	v_mul_lo_u32 v1, s21, v8
	v_mul_lo_u32 v5, s20, v9
	v_mad_u64_u32 v[10:11], s[2:3], s20, v8, 0
	v_add3_u32 v1, v11, v5, v1
	v_sub_u32_e32 v5, v7, v1
	v_mov_b32_e32 v11, s21
	v_sub_co_u32_e32 v14, vcc, v6, v10
	v_lshl_add_u64 v[12:13], v[8:9], 0, 1
	s_nop 0
	v_subb_co_u32_e64 v5, s[2:3], v5, v11, vcc
	v_subrev_co_u32_e64 v10, s[2:3], s20, v14
	v_subb_co_u32_e32 v1, vcc, v7, v1, vcc
	s_nop 0
	v_subbrev_co_u32_e64 v5, s[2:3], 0, v5, s[2:3]
	v_cmp_le_u32_e64 s[2:3], s21, v5
	v_cmp_le_u32_e32 vcc, s21, v1
	s_nop 0
	v_cndmask_b32_e64 v11, 0, -1, s[2:3]
	v_cmp_le_u32_e64 s[2:3], s20, v10
	s_nop 1
	v_cndmask_b32_e64 v10, 0, -1, s[2:3]
	v_cmp_eq_u32_e64 s[2:3], s21, v5
	s_nop 1
	v_cndmask_b32_e64 v5, v11, v10, s[2:3]
	v_lshl_add_u64 v[10:11], v[8:9], 0, 2
	v_cmp_ne_u32_e64 s[2:3], 0, v5
	s_nop 1
	v_cndmask_b32_e64 v5, v13, v11, s[2:3]
	v_cndmask_b32_e64 v11, 0, -1, vcc
	v_cmp_le_u32_e32 vcc, s20, v14
	s_nop 1
	v_cndmask_b32_e64 v13, 0, -1, vcc
	v_cmp_eq_u32_e32 vcc, s21, v1
	s_nop 1
	v_cndmask_b32_e32 v1, v11, v13, vcc
	v_cmp_ne_u32_e32 vcc, 0, v1
	v_cndmask_b32_e64 v1, v12, v10, s[2:3]
	s_nop 0
	v_cndmask_b32_e32 v9, v9, v5, vcc
	v_cndmask_b32_e32 v8, v8, v1, vcc
.LBB0_4:                                ;   in Loop: Header=BB0_2 Depth=1
	s_andn2_saveexec_b64 s[2:3], s[22:23]
	s_cbranch_execz .LBB0_6
; %bb.5:                                ;   in Loop: Header=BB0_2 Depth=1
	v_cvt_f32_u32_e32 v1, s20
	s_sub_i32 s22, 0, s20
	v_rcp_iflag_f32_e32 v1, v1
	s_nop 0
	v_mul_f32_e32 v1, 0x4f7ffffe, v1
	v_cvt_u32_f32_e32 v1, v1
	v_mul_lo_u32 v5, s22, v1
	v_mul_hi_u32 v5, v1, v5
	v_add_u32_e32 v1, v1, v5
	v_mul_hi_u32 v1, v6, v1
	v_mul_lo_u32 v5, v1, s20
	v_sub_u32_e32 v5, v6, v5
	v_add_u32_e32 v8, 1, v1
	v_subrev_u32_e32 v9, s20, v5
	v_cmp_le_u32_e32 vcc, s20, v5
	s_nop 1
	v_cndmask_b32_e32 v5, v5, v9, vcc
	v_cndmask_b32_e32 v1, v1, v8, vcc
	v_add_u32_e32 v8, 1, v1
	v_cmp_le_u32_e32 vcc, s20, v5
	v_mov_b32_e32 v9, v4
	s_nop 0
	v_cndmask_b32_e32 v8, v1, v8, vcc
.LBB0_6:                                ;   in Loop: Header=BB0_2 Depth=1
	s_or_b64 exec, exec, s[2:3]
	v_mad_u64_u32 v[10:11], s[2:3], v8, s20, 0
	s_load_dwordx2 s[2:3], s[14:15], 0x0
	v_mul_lo_u32 v1, v9, s20
	v_mul_lo_u32 v5, v8, s21
	v_add3_u32 v1, v11, v5, v1
	v_sub_co_u32_e32 v5, vcc, v6, v10
	s_add_u32 s16, s16, 1
	s_nop 0
	v_subb_co_u32_e32 v1, vcc, v7, v1, vcc
	s_addc_u32 s17, s17, 0
	s_waitcnt lgkmcnt(0)
	v_mul_lo_u32 v1, s2, v1
	v_mul_lo_u32 v6, s3, v5
	v_mad_u64_u32 v[2:3], s[2:3], s2, v5, v[2:3]
	s_add_u32 s14, s14, 8
	v_add3_u32 v3, v6, v3, v1
	s_addc_u32 s15, s15, 0
	v_mov_b64_e32 v[6:7], s[6:7]
	s_add_u32 s18, s18, 8
	v_cmp_ge_u64_e32 vcc, s[16:17], v[6:7]
	s_addc_u32 s19, s19, 0
	s_cbranch_vccnz .LBB0_9
; %bb.7:                                ;   in Loop: Header=BB0_2 Depth=1
	v_mov_b64_e32 v[6:7], v[8:9]
	s_branch .LBB0_2
.LBB0_8:
	v_mov_b64_e32 v[8:9], v[6:7]
.LBB0_9:
	s_lshl_b64 s[2:3], s[6:7], 3
	s_add_u32 s2, s12, s2
	s_addc_u32 s3, s13, s3
	s_load_dwordx2 s[6:7], s[2:3], 0x0
	s_load_dwordx2 s[12:13], s[0:1], 0x20
	v_mov_b32_e32 v138, 0
                                        ; implicit-def: $vgpr50_vgpr51
                                        ; implicit-def: $vgpr42_vgpr43
                                        ; implicit-def: $vgpr46_vgpr47
                                        ; implicit-def: $vgpr34_vgpr35
                                        ; implicit-def: $vgpr38_vgpr39
                                        ; implicit-def: $vgpr26_vgpr27
                                        ; implicit-def: $vgpr30_vgpr31
                                        ; implicit-def: $vgpr18_vgpr19
                                        ; implicit-def: $vgpr22_vgpr23
                                        ; implicit-def: $vgpr10_vgpr11
                                        ; implicit-def: $vgpr14_vgpr15
                                        ; implicit-def: $vgpr6_vgpr7
	s_waitcnt lgkmcnt(0)
	v_mad_u64_u32 v[88:89], s[0:1], s6, v8, v[2:3]
	v_mul_lo_u32 v1, s6, v9
	v_mul_lo_u32 v4, s7, v8
	s_mov_b32 s0, 0x1ca4b31
	v_add3_u32 v89, v4, v89, v1
	v_mul_hi_u32 v1, v0, s0
	v_mul_u32_u24_e32 v1, 0x8f, v1
	v_cmp_gt_u64_e32 vcc, s[12:13], v[8:9]
	v_sub_u32_e32 v139, v0, v1
                                        ; implicit-def: $vgpr2_vgpr3
	s_and_saveexec_b64 s[2:3], vcc
	s_cbranch_execz .LBB0_13
; %bb.10:
	s_movk_i32 s0, 0x79
	v_cmp_gt_u32_e64 s[0:1], s0, v139
                                        ; implicit-def: $vgpr0_vgpr1
                                        ; implicit-def: $vgpr4_vgpr5
                                        ; implicit-def: $vgpr12_vgpr13
                                        ; implicit-def: $vgpr8_vgpr9
                                        ; implicit-def: $vgpr20_vgpr21
                                        ; implicit-def: $vgpr16_vgpr17
                                        ; implicit-def: $vgpr28_vgpr29
                                        ; implicit-def: $vgpr24_vgpr25
                                        ; implicit-def: $vgpr36_vgpr37
                                        ; implicit-def: $vgpr32_vgpr33
                                        ; implicit-def: $vgpr44_vgpr45
                                        ; implicit-def: $vgpr40_vgpr41
                                        ; implicit-def: $vgpr48_vgpr49
	s_and_saveexec_b64 s[6:7], s[0:1]
	s_cbranch_execz .LBB0_12
; %bb.11:
	v_mad_u64_u32 v[0:1], s[0:1], s8, v139, 0
	v_mov_b32_e32 v2, v1
	v_mad_u64_u32 v[2:3], s[0:1], s9, v139, v[2:3]
	v_mov_b32_e32 v1, v2
	v_lshl_add_u64 v[48:49], v[88:89], 4, s[10:11]
	v_add_u32_e32 v3, 0x79, v139
	v_lshl_add_u64 v[8:9], v[0:1], 4, v[48:49]
	v_mad_u64_u32 v[0:1], s[0:1], s8, v3, 0
	v_mov_b32_e32 v2, v1
	v_mad_u64_u32 v[2:3], s[0:1], s9, v3, v[2:3]
	v_mov_b32_e32 v1, v2
	v_lshl_add_u64 v[10:11], v[0:1], 4, v[48:49]
	global_load_dwordx4 v[0:3], v[8:9], off
	global_load_dwordx4 v[4:7], v[10:11], off
	v_add_u32_e32 v11, 0xf2, v139
	v_mad_u64_u32 v[8:9], s[0:1], s8, v11, 0
	v_mov_b32_e32 v10, v9
	v_mad_u64_u32 v[10:11], s[0:1], s9, v11, v[10:11]
	v_mov_b32_e32 v9, v10
	v_add_u32_e32 v11, 0x16b, v139
	v_lshl_add_u64 v[16:17], v[8:9], 4, v[48:49]
	v_mad_u64_u32 v[8:9], s[0:1], s8, v11, 0
	v_mov_b32_e32 v10, v9
	v_mad_u64_u32 v[10:11], s[0:1], s9, v11, v[10:11]
	v_mov_b32_e32 v9, v10
	v_lshl_add_u64 v[18:19], v[8:9], 4, v[48:49]
	global_load_dwordx4 v[12:15], v[16:17], off
	global_load_dwordx4 v[8:11], v[18:19], off
	v_add_u32_e32 v19, 0x1e4, v139
	v_mad_u64_u32 v[16:17], s[0:1], s8, v19, 0
	v_mov_b32_e32 v18, v17
	v_mad_u64_u32 v[18:19], s[0:1], s9, v19, v[18:19]
	v_mov_b32_e32 v17, v18
	v_add_u32_e32 v19, 0x25d, v139
	v_lshl_add_u64 v[24:25], v[16:17], 4, v[48:49]
	v_mad_u64_u32 v[16:17], s[0:1], s8, v19, 0
	v_mov_b32_e32 v18, v17
	v_mad_u64_u32 v[18:19], s[0:1], s9, v19, v[18:19]
	v_mov_b32_e32 v17, v18
	v_lshl_add_u64 v[26:27], v[16:17], 4, v[48:49]
	global_load_dwordx4 v[20:23], v[24:25], off
	global_load_dwordx4 v[16:19], v[26:27], off
	v_add_u32_e32 v27, 0x2d6, v139
	v_mad_u64_u32 v[24:25], s[0:1], s8, v27, 0
	v_mov_b32_e32 v26, v25
	v_mad_u64_u32 v[26:27], s[0:1], s9, v27, v[26:27]
	v_mov_b32_e32 v25, v26
	v_add_u32_e32 v27, 0x34f, v139
	v_lshl_add_u64 v[32:33], v[24:25], 4, v[48:49]
	v_mad_u64_u32 v[24:25], s[0:1], s8, v27, 0
	v_mov_b32_e32 v26, v25
	v_mad_u64_u32 v[26:27], s[0:1], s9, v27, v[26:27]
	v_mov_b32_e32 v25, v26
	v_lshl_add_u64 v[34:35], v[24:25], 4, v[48:49]
	global_load_dwordx4 v[28:31], v[32:33], off
	global_load_dwordx4 v[24:27], v[34:35], off
	v_add_u32_e32 v35, 0x3c8, v139
	v_mad_u64_u32 v[32:33], s[0:1], s8, v35, 0
	v_mov_b32_e32 v34, v33
	v_mad_u64_u32 v[34:35], s[0:1], s9, v35, v[34:35]
	v_mov_b32_e32 v33, v34
	v_add_u32_e32 v35, 0x441, v139
	v_lshl_add_u64 v[40:41], v[32:33], 4, v[48:49]
	v_mad_u64_u32 v[32:33], s[0:1], s8, v35, 0
	v_mov_b32_e32 v34, v33
	v_mad_u64_u32 v[34:35], s[0:1], s9, v35, v[34:35]
	v_mov_b32_e32 v33, v34
	v_lshl_add_u64 v[42:43], v[32:33], 4, v[48:49]
	global_load_dwordx4 v[36:39], v[40:41], off
	global_load_dwordx4 v[32:35], v[42:43], off
	v_add_u32_e32 v43, 0x4ba, v139
	v_mad_u64_u32 v[40:41], s[0:1], s8, v43, 0
	v_mov_b32_e32 v42, v41
	v_mad_u64_u32 v[42:43], s[0:1], s9, v43, v[42:43]
	v_mov_b32_e32 v41, v42
	v_add_u32_e32 v43, 0x533, v139
	v_lshl_add_u64 v[50:51], v[40:41], 4, v[48:49]
	v_mad_u64_u32 v[40:41], s[0:1], s8, v43, 0
	v_mov_b32_e32 v42, v41
	v_mad_u64_u32 v[42:43], s[0:1], s9, v43, v[42:43]
	v_mov_b32_e32 v41, v42
	v_lshl_add_u64 v[52:53], v[40:41], 4, v[48:49]
	global_load_dwordx4 v[44:47], v[50:51], off
	global_load_dwordx4 v[40:43], v[52:53], off
	v_add_u32_e32 v53, 0x5ac, v139
	v_mad_u64_u32 v[50:51], s[0:1], s8, v53, 0
	v_mov_b32_e32 v52, v51
	v_mad_u64_u32 v[52:53], s[0:1], s9, v53, v[52:53]
	v_mov_b32_e32 v51, v52
	v_lshl_add_u64 v[48:49], v[50:51], 4, v[48:49]
	global_load_dwordx4 v[48:51], v[48:49], off
.LBB0_12:
	s_or_b64 exec, exec, s[6:7]
	v_mov_b32_e32 v138, v139
.LBB0_13:
	s_or_b64 exec, exec, s[2:3]
	s_movk_i32 s0, 0x79
	v_cmp_gt_u32_e64 s[0:1], s0, v139
	s_and_saveexec_b64 s[2:3], s[0:1]
	s_cbranch_execz .LBB0_15
; %bb.14:
	s_mov_b32 s18, 0x4bc48dbf
	s_waitcnt vmcnt(0)
	v_add_f64 v[114:115], v[4:5], -v[48:49]
	s_mov_b32 s19, 0xbfcea1e5
	s_mov_b32 s0, 0x93053d00
	;; [unrolled: 1-line block ×5, first 2 shown]
	v_add_f64 v[98:99], v[50:51], v[6:7]
	v_mul_f64 v[56:57], v[114:115], s[18:19]
	s_mov_b32 s1, 0xbfef11f4
	v_add_f64 v[118:119], v[12:13], -v[40:41]
	s_mov_b32 s24, 0x24c2f84
	s_mov_b32 s15, 0x3fec55a7
	v_fma_f64 v[52:53], v[98:99], s[0:1], -v[56:57]
	v_add_f64 v[90:91], v[42:43], v[14:15]
	v_mul_f64 v[58:59], v[118:119], s[20:21]
	s_mov_b32 s25, 0xbfe5384d
	s_mov_b32 s6, 0xd0032e0c
	v_add_f64 v[116:117], v[8:9], -v[44:45]
	s_mov_b32 s36, 0x42a4c3d2
	v_add_f64 v[52:53], v[2:3], v[52:53]
	v_fma_f64 v[54:55], v[90:91], s[14:15], -v[58:59]
	s_mov_b32 s7, 0xbfe7f3cc
	v_add_f64 v[92:93], v[46:47], v[10:11]
	v_mul_f64 v[60:61], v[116:117], s[24:25]
	s_mov_b32 s37, 0x3fea55e2
	s_mov_b32 s12, 0x1ea71119
	v_add_f64 v[120:121], v[20:21], -v[32:33]
	s_mov_b32 s26, 0x2ef20147
	v_add_f64 v[52:53], v[54:55], v[52:53]
	v_fma_f64 v[54:55], v[92:93], s[6:7], -v[60:61]
	s_mov_b32 s13, 0x3fe22d96
	v_add_f64 v[94:95], v[34:35], v[22:23]
	v_mul_f64 v[62:63], v[120:121], s[36:37]
	s_mov_b32 s27, 0xbfedeba7
	s_mov_b32 s16, 0xb2365da1
	v_add_f64 v[122:123], v[16:17], -v[36:37]
	v_add_f64 v[52:53], v[54:55], v[52:53]
	v_fma_f64 v[54:55], v[94:95], s[12:13], -v[62:63]
	s_mov_b32 s17, 0xbfd6b1d8
	v_add_f64 v[96:97], v[38:39], v[18:19]
	v_mul_f64 v[64:65], v[122:123], s[26:27]
	v_add_f64 v[124:125], v[6:7], -v[50:51]
	v_add_f64 v[52:53], v[54:55], v[52:53]
	v_fma_f64 v[54:55], v[96:97], s[16:17], -v[64:65]
	v_add_f64 v[110:111], v[48:49], v[4:5]
	v_mul_f64 v[66:67], v[124:125], s[18:19]
	v_add_f64 v[130:131], v[14:15], -v[42:43]
	v_add_f64 v[52:53], v[54:55], v[52:53]
	v_fma_f64 v[54:55], s[0:1], v[110:111], v[66:67]
	v_add_f64 v[100:101], v[40:41], v[12:13]
	v_mul_f64 v[68:69], v[130:131], s[20:21]
	v_add_f64 v[54:55], v[0:1], v[54:55]
	v_fma_f64 v[70:71], s[14:15], v[100:101], v[68:69]
	v_add_f64 v[126:127], v[10:11], -v[46:47]
	v_fmac_f64_e32 v[56:57], s[0:1], v[98:99]
	v_add_f64 v[54:55], v[70:71], v[54:55]
	v_add_f64 v[102:103], v[44:45], v[8:9]
	v_mul_f64 v[70:71], v[126:127], s[24:25]
	v_fmac_f64_e32 v[58:59], s[14:15], v[90:91]
	v_add_f64 v[56:57], v[2:3], v[56:57]
	v_fma_f64 v[72:73], s[6:7], v[102:103], v[70:71]
	v_add_f64 v[128:129], v[22:23], -v[34:35]
	v_add_f64 v[56:57], v[58:59], v[56:57]
	v_fmac_f64_e32 v[60:61], s[6:7], v[92:93]
	v_add_f64 v[54:55], v[72:73], v[54:55]
	v_add_f64 v[104:105], v[32:33], v[20:21]
	v_mul_f64 v[72:73], v[128:129], s[36:37]
	v_add_f64 v[56:57], v[60:61], v[56:57]
	v_fma_f64 v[60:61], v[110:111], s[0:1], -v[66:67]
	v_fma_f64 v[74:75], s[12:13], v[104:105], v[72:73]
	v_add_f64 v[132:133], v[18:19], -v[38:39]
	s_mov_b32 s30, 0x66966769
	v_fma_f64 v[58:59], v[100:101], s[14:15], -v[68:69]
	v_add_f64 v[60:61], v[0:1], v[60:61]
	v_add_f64 v[54:55], v[74:75], v[54:55]
	;; [unrolled: 1-line block ×3, first 2 shown]
	v_mul_f64 v[74:75], v[132:133], s[26:27]
	s_mov_b32 s31, 0x3fefc445
	s_mov_b32 s22, 0xebaa3ed8
	v_add_f64 v[134:135], v[28:29], -v[24:25]
	v_fmac_f64_e32 v[62:63], s[12:13], v[94:95]
	v_add_f64 v[58:59], v[58:59], v[60:61]
	v_fma_f64 v[60:61], v[102:103], s[6:7], -v[70:71]
	v_fma_f64 v[76:77], s[16:17], v[106:107], v[74:75]
	s_mov_b32 s23, 0x3fbedb7d
	v_add_f64 v[112:113], v[26:27], v[30:31]
	v_mul_f64 v[78:79], v[134:135], s[30:31]
	v_add_f64 v[136:137], v[30:31], -v[26:27]
	v_add_f64 v[56:57], v[62:63], v[56:57]
	v_fmac_f64_e32 v[64:65], s[16:17], v[96:97]
	v_add_f64 v[58:59], v[60:61], v[58:59]
	v_fma_f64 v[60:61], v[104:105], s[12:13], -v[72:73]
	v_add_f64 v[76:77], v[76:77], v[54:55]
	v_fma_f64 v[54:55], v[112:113], s[22:23], -v[78:79]
	v_add_f64 v[108:109], v[24:25], v[28:29]
	v_mul_f64 v[80:81], v[136:137], s[30:31]
	v_add_f64 v[56:57], v[64:65], v[56:57]
	v_add_f64 v[58:59], v[60:61], v[58:59]
	v_fma_f64 v[60:61], v[106:107], s[16:17], -v[74:75]
	v_fmac_f64_e32 v[78:79], s[22:23], v[112:113]
	v_add_f64 v[60:61], v[60:61], v[58:59]
	v_add_f64 v[58:59], v[78:79], v[56:57]
	v_fma_f64 v[56:57], v[108:109], s[22:23], -v[80:81]
	v_mul_f64 v[64:65], v[114:115], s[24:25]
	v_add_f64 v[56:57], v[56:57], v[60:61]
	v_fma_f64 v[60:61], v[98:99], s[6:7], -v[64:65]
	v_mul_f64 v[66:67], v[118:119], s[30:31]
	s_mov_b32 s29, 0xbfea55e2
	s_mov_b32 s28, s36
	v_add_f64 v[60:61], v[2:3], v[60:61]
	v_fma_f64 v[62:63], v[90:91], s[22:23], -v[66:67]
	v_mul_f64 v[68:69], v[116:117], s[28:29]
	s_mov_b32 s41, 0x3fcea1e5
	s_mov_b32 s40, s18
	v_add_f64 v[60:61], v[62:63], v[60:61]
	v_fma_f64 v[62:63], v[92:93], s[12:13], -v[68:69]
	v_mul_f64 v[70:71], v[120:121], s[40:41]
	v_add_f64 v[60:61], v[62:63], v[60:61]
	v_fma_f64 v[62:63], v[94:95], s[0:1], -v[70:71]
	v_mul_f64 v[72:73], v[122:123], s[20:21]
	v_add_f64 v[54:55], v[54:55], v[52:53]
	v_fma_f64 v[52:53], s[22:23], v[108:109], v[80:81]
	v_add_f64 v[60:61], v[62:63], v[60:61]
	v_fma_f64 v[62:63], v[96:97], s[14:15], -v[72:73]
	v_mul_f64 v[74:75], v[124:125], s[24:25]
	v_add_f64 v[52:53], v[52:53], v[76:77]
	v_add_f64 v[60:61], v[62:63], v[60:61]
	v_fma_f64 v[62:63], s[6:7], v[110:111], v[74:75]
	v_mul_f64 v[76:77], v[130:131], s[30:31]
	v_add_f64 v[62:63], v[0:1], v[62:63]
	v_fma_f64 v[78:79], s[22:23], v[100:101], v[76:77]
	v_fmac_f64_e32 v[64:65], s[6:7], v[98:99]
	v_add_f64 v[62:63], v[78:79], v[62:63]
	v_mul_f64 v[78:79], v[126:127], s[28:29]
	v_fmac_f64_e32 v[66:67], s[22:23], v[90:91]
	v_add_f64 v[64:65], v[2:3], v[64:65]
	v_fma_f64 v[80:81], s[12:13], v[102:103], v[78:79]
	v_add_f64 v[64:65], v[66:67], v[64:65]
	v_fmac_f64_e32 v[68:69], s[12:13], v[92:93]
	v_add_f64 v[62:63], v[80:81], v[62:63]
	v_mul_f64 v[80:81], v[128:129], s[40:41]
	v_add_f64 v[64:65], v[68:69], v[64:65]
	v_fma_f64 v[68:69], v[110:111], s[6:7], -v[74:75]
	v_fma_f64 v[82:83], s[0:1], v[104:105], v[80:81]
	v_fma_f64 v[66:67], v[100:101], s[22:23], -v[76:77]
	v_add_f64 v[68:69], v[0:1], v[68:69]
	v_add_f64 v[62:63], v[82:83], v[62:63]
	v_mul_f64 v[82:83], v[132:133], s[20:21]
	v_fmac_f64_e32 v[70:71], s[0:1], v[94:95]
	v_add_f64 v[66:67], v[66:67], v[68:69]
	v_fma_f64 v[68:69], v[102:103], s[12:13], -v[78:79]
	v_fma_f64 v[84:85], s[14:15], v[106:107], v[82:83]
	v_mul_f64 v[86:87], v[134:135], s[26:27]
	v_add_f64 v[64:65], v[70:71], v[64:65]
	v_fmac_f64_e32 v[72:73], s[14:15], v[96:97]
	v_add_f64 v[66:67], v[68:69], v[66:67]
	v_fma_f64 v[68:69], v[104:105], s[0:1], -v[80:81]
	v_add_f64 v[84:85], v[84:85], v[62:63]
	v_fma_f64 v[62:63], v[112:113], s[16:17], -v[86:87]
	v_mul_f64 v[140:141], v[136:137], s[26:27]
	v_add_f64 v[64:65], v[72:73], v[64:65]
	v_add_f64 v[66:67], v[68:69], v[66:67]
	v_fma_f64 v[68:69], v[106:107], s[14:15], -v[82:83]
	v_fmac_f64_e32 v[86:87], s[16:17], v[112:113]
	v_add_f64 v[68:69], v[68:69], v[66:67]
	v_add_f64 v[66:67], v[86:87], v[64:65]
	v_fma_f64 v[64:65], v[108:109], s[16:17], -v[140:141]
	s_mov_b32 s39, 0x3fe5384d
	s_mov_b32 s38, s24
	v_mul_f64 v[72:73], v[114:115], s[26:27]
	v_add_f64 v[64:65], v[64:65], v[68:69]
	v_fma_f64 v[68:69], v[98:99], s[16:17], -v[72:73]
	v_mul_f64 v[74:75], v[118:119], s[38:39]
	v_add_f64 v[68:69], v[2:3], v[68:69]
	v_fma_f64 v[70:71], v[90:91], s[6:7], -v[74:75]
	v_mul_f64 v[76:77], v[116:117], s[20:21]
	s_mov_b32 s35, 0xbfefc445
	s_mov_b32 s34, s30
	v_add_f64 v[68:69], v[70:71], v[68:69]
	v_fma_f64 v[70:71], v[92:93], s[14:15], -v[76:77]
	v_mul_f64 v[78:79], v[120:121], s[34:35]
	v_add_f64 v[68:69], v[70:71], v[68:69]
	v_fma_f64 v[70:71], v[94:95], s[22:23], -v[78:79]
	v_mul_f64 v[80:81], v[122:123], s[40:41]
	v_add_f64 v[62:63], v[62:63], v[60:61]
	v_fma_f64 v[60:61], s[16:17], v[108:109], v[140:141]
	v_add_f64 v[68:69], v[70:71], v[68:69]
	v_fma_f64 v[70:71], v[96:97], s[0:1], -v[80:81]
	v_mul_f64 v[82:83], v[124:125], s[26:27]
	v_add_f64 v[60:61], v[60:61], v[84:85]
	v_add_f64 v[68:69], v[70:71], v[68:69]
	v_fma_f64 v[70:71], s[16:17], v[110:111], v[82:83]
	v_mul_f64 v[84:85], v[130:131], s[38:39]
	v_add_f64 v[70:71], v[0:1], v[70:71]
	v_fma_f64 v[86:87], s[6:7], v[100:101], v[84:85]
	v_fmac_f64_e32 v[72:73], s[16:17], v[98:99]
	v_add_f64 v[70:71], v[86:87], v[70:71]
	v_mul_f64 v[86:87], v[126:127], s[20:21]
	v_fmac_f64_e32 v[74:75], s[6:7], v[90:91]
	v_add_f64 v[72:73], v[2:3], v[72:73]
	v_fma_f64 v[140:141], s[14:15], v[102:103], v[86:87]
	v_add_f64 v[72:73], v[74:75], v[72:73]
	v_fmac_f64_e32 v[76:77], s[14:15], v[92:93]
	v_add_f64 v[70:71], v[140:141], v[70:71]
	v_mul_f64 v[140:141], v[128:129], s[34:35]
	v_add_f64 v[72:73], v[76:77], v[72:73]
	v_fma_f64 v[76:77], v[110:111], s[16:17], -v[82:83]
	v_fma_f64 v[142:143], s[22:23], v[104:105], v[140:141]
	v_fma_f64 v[74:75], v[100:101], s[6:7], -v[84:85]
	v_add_f64 v[76:77], v[0:1], v[76:77]
	v_add_f64 v[70:71], v[142:143], v[70:71]
	v_mul_f64 v[142:143], v[132:133], s[40:41]
	v_fmac_f64_e32 v[78:79], s[22:23], v[94:95]
	v_add_f64 v[74:75], v[74:75], v[76:77]
	v_fma_f64 v[76:77], v[102:103], s[14:15], -v[86:87]
	v_fma_f64 v[144:145], s[0:1], v[106:107], v[142:143]
	v_mul_f64 v[146:147], v[134:135], s[36:37]
	v_add_f64 v[72:73], v[78:79], v[72:73]
	v_fmac_f64_e32 v[80:81], s[0:1], v[96:97]
	v_add_f64 v[74:75], v[76:77], v[74:75]
	v_fma_f64 v[76:77], v[104:105], s[22:23], -v[140:141]
	v_add_f64 v[144:145], v[144:145], v[70:71]
	v_fma_f64 v[70:71], v[112:113], s[12:13], -v[146:147]
	v_mul_f64 v[148:149], v[136:137], s[36:37]
	v_add_f64 v[72:73], v[80:81], v[72:73]
	v_add_f64 v[74:75], v[76:77], v[74:75]
	v_fma_f64 v[76:77], v[106:107], s[0:1], -v[142:143]
	v_fmac_f64_e32 v[146:147], s[12:13], v[112:113]
	v_add_f64 v[76:77], v[76:77], v[74:75]
	v_add_f64 v[74:75], v[146:147], v[72:73]
	v_fma_f64 v[72:73], v[108:109], s[12:13], -v[148:149]
	v_mul_f64 v[80:81], v[114:115], s[34:35]
	v_add_f64 v[72:73], v[72:73], v[76:77]
	v_fma_f64 v[76:77], v[98:99], s[22:23], -v[80:81]
	v_mul_f64 v[82:83], v[118:119], s[18:19]
	s_mov_b32 s37, 0x3fedeba7
	s_mov_b32 s36, s26
	v_add_f64 v[76:77], v[2:3], v[76:77]
	v_fma_f64 v[78:79], v[90:91], s[0:1], -v[82:83]
	v_mul_f64 v[84:85], v[116:117], s[36:37]
	v_add_f64 v[76:77], v[78:79], v[76:77]
	v_fma_f64 v[78:79], v[92:93], s[16:17], -v[84:85]
	v_mul_f64 v[86:87], v[120:121], s[20:21]
	;; [unrolled: 3-line block ×3, first 2 shown]
	v_add_f64 v[70:71], v[70:71], v[68:69]
	v_fma_f64 v[68:69], s[12:13], v[108:109], v[148:149]
	v_add_f64 v[76:77], v[78:79], v[76:77]
	v_fma_f64 v[78:79], v[96:97], s[12:13], -v[140:141]
	v_mul_f64 v[142:143], v[124:125], s[34:35]
	v_add_f64 v[68:69], v[68:69], v[144:145]
	v_add_f64 v[76:77], v[78:79], v[76:77]
	v_fma_f64 v[78:79], s[22:23], v[110:111], v[142:143]
	v_mul_f64 v[144:145], v[130:131], s[18:19]
	v_add_f64 v[78:79], v[0:1], v[78:79]
	v_fma_f64 v[146:147], s[0:1], v[100:101], v[144:145]
	v_fmac_f64_e32 v[80:81], s[22:23], v[98:99]
	v_add_f64 v[78:79], v[146:147], v[78:79]
	v_mul_f64 v[146:147], v[126:127], s[36:37]
	v_fmac_f64_e32 v[82:83], s[0:1], v[90:91]
	v_add_f64 v[80:81], v[2:3], v[80:81]
	v_fma_f64 v[148:149], s[16:17], v[102:103], v[146:147]
	v_add_f64 v[80:81], v[82:83], v[80:81]
	v_fmac_f64_e32 v[84:85], s[16:17], v[92:93]
	v_add_f64 v[78:79], v[148:149], v[78:79]
	v_mul_f64 v[148:149], v[128:129], s[20:21]
	v_add_f64 v[80:81], v[84:85], v[80:81]
	v_fma_f64 v[84:85], v[110:111], s[22:23], -v[142:143]
	v_fma_f64 v[150:151], s[14:15], v[104:105], v[148:149]
	v_fma_f64 v[82:83], v[100:101], s[0:1], -v[144:145]
	v_add_f64 v[84:85], v[0:1], v[84:85]
	v_add_f64 v[78:79], v[150:151], v[78:79]
	v_mul_f64 v[150:151], v[132:133], s[28:29]
	v_fmac_f64_e32 v[86:87], s[14:15], v[94:95]
	v_add_f64 v[82:83], v[82:83], v[84:85]
	v_fma_f64 v[84:85], v[102:103], s[16:17], -v[146:147]
	v_fma_f64 v[152:153], s[12:13], v[106:107], v[150:151]
	v_mul_f64 v[154:155], v[134:135], s[24:25]
	v_add_f64 v[80:81], v[86:87], v[80:81]
	v_fmac_f64_e32 v[140:141], s[12:13], v[96:97]
	v_add_f64 v[82:83], v[84:85], v[82:83]
	v_fma_f64 v[84:85], v[104:105], s[14:15], -v[148:149]
	v_add_f64 v[152:153], v[152:153], v[78:79]
	v_fma_f64 v[78:79], v[112:113], s[6:7], -v[154:155]
	v_mul_f64 v[156:157], v[136:137], s[24:25]
	v_add_f64 v[80:81], v[140:141], v[80:81]
	v_add_f64 v[82:83], v[84:85], v[82:83]
	v_fma_f64 v[84:85], v[106:107], s[12:13], -v[150:151]
	v_fmac_f64_e32 v[154:155], s[6:7], v[112:113]
	v_add_f64 v[84:85], v[84:85], v[82:83]
	v_add_f64 v[82:83], v[154:155], v[80:81]
	v_fma_f64 v[80:81], v[108:109], s[6:7], -v[156:157]
	v_mul_f64 v[140:141], v[114:115], s[28:29]
	v_add_f64 v[80:81], v[80:81], v[84:85]
	v_fma_f64 v[84:85], v[98:99], s[12:13], -v[140:141]
	v_mul_f64 v[142:143], v[118:119], s[26:27]
	;; [unrolled: 3-line block ×5, first 2 shown]
	v_add_f64 v[78:79], v[78:79], v[76:77]
	v_fma_f64 v[76:77], s[6:7], v[108:109], v[156:157]
	v_add_f64 v[84:85], v[86:87], v[84:85]
	v_fma_f64 v[86:87], v[96:97], s[22:23], -v[148:149]
	v_mul_f64 v[150:151], v[124:125], s[28:29]
	v_add_f64 v[76:77], v[76:77], v[152:153]
	v_add_f64 v[84:85], v[86:87], v[84:85]
	v_fma_f64 v[86:87], s[12:13], v[110:111], v[150:151]
	v_mul_f64 v[152:153], v[130:131], s[26:27]
	v_add_f64 v[86:87], v[0:1], v[86:87]
	v_fma_f64 v[154:155], s[16:17], v[100:101], v[152:153]
	v_fmac_f64_e32 v[140:141], s[12:13], v[98:99]
	v_add_f64 v[86:87], v[154:155], v[86:87]
	v_mul_f64 v[154:155], v[126:127], s[18:19]
	v_fmac_f64_e32 v[142:143], s[16:17], v[90:91]
	v_add_f64 v[140:141], v[2:3], v[140:141]
	v_fma_f64 v[156:157], s[0:1], v[102:103], v[154:155]
	v_add_f64 v[140:141], v[142:143], v[140:141]
	v_fmac_f64_e32 v[144:145], s[0:1], v[92:93]
	v_add_f64 v[86:87], v[156:157], v[86:87]
	v_mul_f64 v[156:157], v[128:129], s[38:39]
	v_add_f64 v[140:141], v[144:145], v[140:141]
	v_fma_f64 v[144:145], v[110:111], s[12:13], -v[150:151]
	v_fma_f64 v[158:159], s[6:7], v[104:105], v[156:157]
	v_fma_f64 v[142:143], v[100:101], s[16:17], -v[152:153]
	v_add_f64 v[144:145], v[0:1], v[144:145]
	v_add_f64 v[86:87], v[158:159], v[86:87]
	v_mul_f64 v[158:159], v[132:133], s[30:31]
	v_fmac_f64_e32 v[146:147], s[6:7], v[94:95]
	v_add_f64 v[142:143], v[142:143], v[144:145]
	v_fma_f64 v[144:145], v[102:103], s[0:1], -v[154:155]
	v_fma_f64 v[160:161], s[22:23], v[106:107], v[158:159]
	v_mul_f64 v[162:163], v[134:135], s[20:21]
	v_add_f64 v[140:141], v[146:147], v[140:141]
	v_fmac_f64_e32 v[148:149], s[22:23], v[96:97]
	v_add_f64 v[142:143], v[144:145], v[142:143]
	v_fma_f64 v[144:145], v[104:105], s[6:7], -v[156:157]
	v_add_f64 v[160:161], v[160:161], v[86:87]
	v_fma_f64 v[86:87], v[112:113], s[14:15], -v[162:163]
	v_mul_f64 v[164:165], v[136:137], s[20:21]
	v_add_f64 v[140:141], v[148:149], v[140:141]
	v_add_f64 v[142:143], v[144:145], v[142:143]
	v_fma_f64 v[144:145], v[106:107], s[22:23], -v[158:159]
	v_fmac_f64_e32 v[162:163], s[14:15], v[112:113]
	v_add_f64 v[144:145], v[144:145], v[142:143]
	v_add_f64 v[142:143], v[162:163], v[140:141]
	v_fma_f64 v[140:141], v[108:109], s[14:15], -v[164:165]
	s_mov_b32 s21, 0xbfddbe06
	v_add_f64 v[140:141], v[140:141], v[144:145]
	v_mul_f64 v[144:145], v[114:115], s[20:21]
	v_mul_f64 v[118:119], v[118:119], s[28:29]
	v_fma_f64 v[114:115], v[98:99], s[14:15], -v[144:145]
	v_add_f64 v[114:115], v[2:3], v[114:115]
	v_fma_f64 v[146:147], v[90:91], s[12:13], -v[118:119]
	v_add_f64 v[114:115], v[146:147], v[114:115]
	v_mul_f64 v[146:147], v[116:117], s[34:35]
	v_add_f64 v[6:7], v[6:7], v[2:3]
	v_add_f64 v[4:5], v[4:5], v[0:1]
	v_fma_f64 v[116:117], v[92:93], s[22:23], -v[146:147]
	v_mul_f64 v[120:121], v[120:121], s[26:27]
	v_add_f64 v[6:7], v[14:15], v[6:7]
	v_add_f64 v[4:5], v[12:13], v[4:5]
	v_add_f64 v[114:115], v[116:117], v[114:115]
	v_fma_f64 v[116:117], v[94:95], s[16:17], -v[120:121]
	v_mul_f64 v[122:123], v[122:123], s[24:25]
	v_add_f64 v[6:7], v[10:11], v[6:7]
	;; [unrolled: 5-line block ×3, first 2 shown]
	v_add_f64 v[4:5], v[20:21], v[4:5]
	v_add_f64 v[114:115], v[116:117], v[114:115]
	v_mul_f64 v[130:131], v[130:131], s[28:29]
	v_fma_f64 v[116:117], s[14:15], v[110:111], v[124:125]
	v_add_f64 v[6:7], v[18:19], v[6:7]
	v_add_f64 v[4:5], v[16:17], v[4:5]
	;; [unrolled: 1-line block ×3, first 2 shown]
	v_fma_f64 v[148:149], s[12:13], v[100:101], v[130:131]
	v_mul_f64 v[126:127], v[126:127], s[34:35]
	v_add_f64 v[6:7], v[30:31], v[6:7]
	v_add_f64 v[4:5], v[28:29], v[4:5]
	;; [unrolled: 1-line block ×3, first 2 shown]
	v_fma_f64 v[148:149], s[22:23], v[102:103], v[126:127]
	v_mul_f64 v[128:129], v[128:129], s[26:27]
	v_fmac_f64_e32 v[144:145], s[14:15], v[98:99]
	v_fma_f64 v[98:99], v[110:111], s[14:15], -v[124:125]
	v_add_f64 v[6:7], v[26:27], v[6:7]
	v_add_f64 v[4:5], v[24:25], v[4:5]
	;; [unrolled: 1-line block ×3, first 2 shown]
	v_fma_f64 v[148:149], s[16:17], v[104:105], v[128:129]
	v_mul_f64 v[132:133], v[132:133], s[24:25]
	v_add_f64 v[2:3], v[2:3], v[144:145]
	v_add_f64 v[0:1], v[0:1], v[98:99]
	v_fmac_f64_e32 v[118:119], s[12:13], v[90:91]
	v_fma_f64 v[98:99], v[100:101], s[12:13], -v[130:131]
	v_add_f64 v[6:7], v[38:39], v[6:7]
	v_add_f64 v[4:5], v[36:37], v[4:5]
	;; [unrolled: 1-line block ×3, first 2 shown]
	v_fma_f64 v[148:149], s[6:7], v[106:107], v[132:133]
	v_mul_f64 v[134:135], v[134:135], s[18:19]
	v_fmac_f64_e32 v[122:123], s[6:7], v[96:97]
	v_fmac_f64_e32 v[146:147], s[22:23], v[92:93]
	v_add_f64 v[2:3], v[118:119], v[2:3]
	v_fma_f64 v[96:97], v[102:103], s[22:23], -v[126:127]
	v_add_f64 v[0:1], v[98:99], v[0:1]
	v_add_f64 v[6:7], v[34:35], v[6:7]
	;; [unrolled: 1-line block ×4, first 2 shown]
	v_fma_f64 v[116:117], v[112:113], s[0:1], -v[134:135]
	v_mul_f64 v[136:137], v[136:137], s[18:19]
	v_fmac_f64_e32 v[120:121], s[16:17], v[94:95]
	v_add_f64 v[2:3], v[146:147], v[2:3]
	v_fma_f64 v[94:95], v[104:105], s[16:17], -v[128:129]
	v_add_f64 v[0:1], v[96:97], v[0:1]
	v_add_f64 v[6:7], v[46:47], v[6:7]
	;; [unrolled: 1-line block ×4, first 2 shown]
	v_fma_f64 v[114:115], s[0:1], v[108:109], v[136:137]
	v_fmac_f64_e32 v[134:135], s[0:1], v[112:113]
	v_add_f64 v[2:3], v[120:121], v[2:3]
	v_fma_f64 v[90:91], v[108:109], s[0:1], -v[136:137]
	v_fma_f64 v[92:93], v[106:107], s[6:7], -v[132:133]
	v_add_f64 v[0:1], v[94:95], v[0:1]
	v_add_f64 v[6:7], v[42:43], v[6:7]
	;; [unrolled: 1-line block ×3, first 2 shown]
	s_movk_i32 s0, 0xd0
	v_add_f64 v[86:87], v[86:87], v[84:85]
	v_fma_f64 v[84:85], s[14:15], v[108:109], v[164:165]
	v_add_f64 v[2:3], v[122:123], v[2:3]
	v_add_f64 v[0:1], v[92:93], v[0:1]
	;; [unrolled: 1-line block ×4, first 2 shown]
	v_mad_u32_u24 v8, v139, s0, 0
	v_add_f64 v[84:85], v[84:85], v[160:161]
	v_add_f64 v[114:115], v[114:115], v[148:149]
	;; [unrolled: 1-line block ×4, first 2 shown]
	ds_write_b128 v8, v[4:7]
	ds_write_b128 v8, v[0:3] offset:16
	ds_write_b128 v8, v[140:143] offset:32
	;; [unrolled: 1-line block ×12, first 2 shown]
.LBB0_15:
	s_or_b64 exec, exec, s[2:3]
	s_movk_i32 s0, 0x4f
	s_waitcnt vmcnt(12)
	v_mul_lo_u16_sdwa v0, v139, s0 dst_sel:DWORD dst_unused:UNUSED_PAD src0_sel:BYTE_0 src1_sel:DWORD
	s_waitcnt vmcnt(8)
	v_lshrrev_b16_e32 v21, 10, v0
	v_mul_lo_u16_e32 v0, 13, v21
	v_sub_u16_e32 v22, v139, v0
	v_mov_b32_e32 v0, 10
	v_mul_u32_u24_sdwa v0, v22, v0 dst_sel:DWORD dst_unused:UNUSED_PAD src0_sel:BYTE_0 src1_sel:DWORD
	v_lshlrev_b32_e32 v4, 4, v0
	s_waitcnt lgkmcnt(0)
	s_barrier
	global_load_dwordx4 v[0:3], v4, s[4:5]
	global_load_dwordx4 v[8:11], v4, s[4:5] offset:16
	global_load_dwordx4 v[16:19], v4, s[4:5] offset:32
	;; [unrolled: 1-line block ×9, first 2 shown]
	v_lshl_add_u32 v20, v139, 4, 0
	ds_read_b128 v[52:55], v20
	ds_read_b128 v[56:59], v20 offset:2288
	ds_read_b128 v[60:63], v20 offset:4576
	;; [unrolled: 1-line block ×10, first 2 shown]
	s_mov_b32 s0, 0xf8bb580b
	s_mov_b32 s12, 0x8eee2c13
	;; [unrolled: 1-line block ×28, first 2 shown]
	v_mov_b32_e32 v23, 4
	v_mul_u32_u24_e32 v21, 0x8f0, v21
	v_lshlrev_b32_sdwa v22, v23, v22 dst_sel:DWORD dst_unused:UNUSED_PAD src0_sel:DWORD src1_sel:BYTE_0
	v_add3_u32 v21, 0, v21, v22
	s_waitcnt lgkmcnt(0)
	s_barrier
	s_waitcnt vmcnt(9)
	v_mul_f64 v[98:99], v[58:59], v[2:3]
	v_mul_f64 v[2:3], v[56:57], v[2:3]
	s_waitcnt vmcnt(8)
	v_mul_f64 v[100:101], v[62:63], v[10:11]
	v_mul_f64 v[102:103], v[60:61], v[10:11]
	;; [unrolled: 3-line block ×5, first 2 shown]
	s_waitcnt vmcnt(4)
	v_mul_f64 v[30:31], v[78:79], v[34:35]
	s_waitcnt vmcnt(0)
	v_mul_f64 v[108:109], v[96:97], v[50:51]
	v_mul_f64 v[50:51], v[94:95], v[50:51]
	v_fma_f64 v[56:57], v[56:57], v[0:1], -v[98:99]
	v_fmac_f64_e32 v[2:3], v[58:59], v[0:1]
	v_mul_f64 v[6:7], v[76:77], v[34:35]
	v_mul_f64 v[34:35], v[82:83], v[38:39]
	;; [unrolled: 1-line block ×4, first 2 shown]
	v_fma_f64 v[58:59], v[60:61], v[8:9], -v[100:101]
	v_fmac_f64_e32 v[102:103], v[62:63], v[8:9]
	v_fma_f64 v[60:61], v[64:65], v[16:17], -v[10:11]
	v_fma_f64 v[8:9], v[72:73], v[28:29], -v[26:27]
	v_fmac_f64_e32 v[4:5], v[74:75], v[28:29]
	v_fma_f64 v[10:11], v[76:77], v[32:33], -v[30:31]
	v_fmac_f64_e32 v[50:51], v[96:97], v[48:49]
	v_add_f64 v[28:29], v[52:53], v[56:57]
	v_add_f64 v[30:31], v[54:55], v[2:3]
	v_fmac_f64_e32 v[104:105], v[66:67], v[16:17]
	v_fma_f64 v[16:17], v[68:69], v[24:25], -v[18:19]
	v_fmac_f64_e32 v[12:13], v[70:71], v[24:25]
	v_fma_f64 v[18:19], v[80:81], v[36:37], -v[34:35]
	v_fma_f64 v[24:25], v[84:85], v[40:41], -v[38:39]
	v_add_f64 v[34:35], v[2:3], v[50:51]
	v_add_f64 v[38:39], v[2:3], -v[50:51]
	v_add_f64 v[2:3], v[28:29], v[58:59]
	v_add_f64 v[28:29], v[30:31], v[102:103]
	;; [unrolled: 1-line block ×6, first 2 shown]
	v_fmac_f64_e32 v[6:7], v[78:79], v[32:33]
	v_add_f64 v[2:3], v[2:3], v[8:9]
	v_add_f64 v[28:29], v[28:29], v[4:5]
	v_mul_f64 v[42:43], v[84:85], v[42:43]
	v_fmac_f64_e32 v[14:15], v[82:83], v[36:37]
	v_add_f64 v[2:3], v[2:3], v[10:11]
	v_add_f64 v[28:29], v[28:29], v[6:7]
	v_mul_f64 v[106:107], v[92:93], v[46:47]
	v_mul_f64 v[46:47], v[90:91], v[46:47]
	v_fmac_f64_e32 v[42:43], v[86:87], v[40:41]
	v_add_f64 v[2:3], v[2:3], v[18:19]
	v_add_f64 v[28:29], v[28:29], v[14:15]
	v_fma_f64 v[26:27], v[90:91], v[44:45], -v[106:107]
	v_fmac_f64_e32 v[46:47], v[92:93], v[44:45]
	v_add_f64 v[2:3], v[2:3], v[24:25]
	v_add_f64 v[28:29], v[28:29], v[42:43]
	v_fma_f64 v[0:1], v[94:95], v[48:49], -v[108:109]
	v_add_f64 v[2:3], v[2:3], v[26:27]
	v_add_f64 v[28:29], v[28:29], v[46:47]
	;; [unrolled: 1-line block ×3, first 2 shown]
	v_add_f64 v[36:37], v[56:57], -v[0:1]
	v_add_f64 v[0:1], v[2:3], v[0:1]
	v_add_f64 v[2:3], v[28:29], v[50:51]
	v_mul_f64 v[28:29], v[38:39], s[0:1]
	v_mul_f64 v[48:49], v[38:39], s[12:13]
	;; [unrolled: 1-line block ×5, first 2 shown]
	v_fma_f64 v[80:81], v[32:33], s[22:23], -v[38:39]
	v_fmac_f64_e32 v[38:39], s[22:23], v[32:33]
	v_fma_f64 v[30:31], v[32:33], s[2:3], -v[28:29]
	v_mul_f64 v[40:41], v[36:37], s[0:1]
	v_fmac_f64_e32 v[28:29], s[2:3], v[32:33]
	v_fma_f64 v[50:51], v[32:33], s[6:7], -v[48:49]
	v_mul_f64 v[56:57], v[36:37], s[12:13]
	;; [unrolled: 3-line block ×4, first 2 shown]
	v_fmac_f64_e32 v[72:73], s[18:19], v[32:33]
	v_mul_f64 v[36:37], v[36:37], s[24:25]
	v_add_f64 v[32:33], v[52:53], v[38:39]
	v_add_f64 v[38:39], v[102:103], v[46:47]
	v_add_f64 v[46:47], v[102:103], -v[46:47]
	v_add_f64 v[30:31], v[52:53], v[30:31]
	v_fma_f64 v[44:45], s[2:3], v[34:35], v[40:41]
	v_add_f64 v[28:29], v[52:53], v[28:29]
	v_fma_f64 v[40:41], v[34:35], s[2:3], -v[40:41]
	v_add_f64 v[50:51], v[52:53], v[50:51]
	v_fma_f64 v[62:63], s[6:7], v[34:35], v[56:57]
	v_add_f64 v[48:49], v[52:53], v[48:49]
	v_fma_f64 v[56:57], v[34:35], s[6:7], -v[56:57]
	;; [unrolled: 4-line block ×4, first 2 shown]
	v_add_f64 v[80:81], v[52:53], v[80:81]
	v_fma_f64 v[82:83], s[22:23], v[34:35], v[36:37]
	v_fma_f64 v[34:35], v[34:35], s[22:23], -v[36:37]
	v_add_f64 v[36:37], v[58:59], v[26:27]
	v_mul_f64 v[52:53], v[46:47], s[12:13]
	v_add_f64 v[44:45], v[54:55], v[44:45]
	v_add_f64 v[40:41], v[54:55], v[40:41]
	;; [unrolled: 1-line block ×10, first 2 shown]
	v_add_f64 v[26:27], v[58:59], -v[26:27]
	v_fma_f64 v[54:55], v[36:37], s[6:7], -v[52:53]
	v_add_f64 v[30:31], v[54:55], v[30:31]
	v_mul_f64 v[54:55], v[26:27], s[12:13]
	v_fmac_f64_e32 v[52:53], s[6:7], v[36:37]
	v_add_f64 v[28:29], v[52:53], v[28:29]
	v_fma_f64 v[52:53], v[38:39], s[6:7], -v[54:55]
	v_add_f64 v[40:41], v[52:53], v[40:41]
	v_mul_f64 v[52:53], v[46:47], s[20:21]
	v_fma_f64 v[58:59], s[6:7], v[38:39], v[54:55]
	v_fma_f64 v[54:55], v[36:37], s[18:19], -v[52:53]
	v_add_f64 v[50:51], v[54:55], v[50:51]
	v_mul_f64 v[54:55], v[26:27], s[20:21]
	v_fmac_f64_e32 v[52:53], s[18:19], v[36:37]
	v_add_f64 v[44:45], v[58:59], v[44:45]
	v_fma_f64 v[58:59], s[18:19], v[38:39], v[54:55]
	v_add_f64 v[48:49], v[52:53], v[48:49]
	v_fma_f64 v[52:53], v[38:39], s[18:19], -v[54:55]
	v_mul_f64 v[54:55], v[46:47], s[26:27]
	v_add_f64 v[58:59], v[58:59], v[62:63]
	v_add_f64 v[52:53], v[52:53], v[56:57]
	v_fma_f64 v[56:57], v[36:37], s[22:23], -v[54:55]
	v_mul_f64 v[62:63], v[26:27], s[26:27]
	v_fmac_f64_e32 v[54:55], s[22:23], v[36:37]
	v_add_f64 v[56:57], v[56:57], v[66:67]
	v_fma_f64 v[66:67], s[22:23], v[38:39], v[62:63]
	v_add_f64 v[54:55], v[54:55], v[64:65]
	v_fma_f64 v[62:63], v[38:39], s[22:23], -v[62:63]
	v_mul_f64 v[64:65], v[46:47], s[28:29]
	v_add_f64 v[66:67], v[66:67], v[70:71]
	v_add_f64 v[62:63], v[62:63], v[68:69]
	v_fma_f64 v[68:69], v[36:37], s[14:15], -v[64:65]
	v_mul_f64 v[70:71], v[26:27], s[28:29]
	v_add_f64 v[68:69], v[68:69], v[74:75]
	v_fma_f64 v[74:75], s[14:15], v[38:39], v[70:71]
	v_fma_f64 v[70:71], v[38:39], s[14:15], -v[70:71]
	v_mul_f64 v[26:27], v[26:27], s[30:31]
	v_fmac_f64_e32 v[64:65], s[14:15], v[36:37]
	v_add_f64 v[70:71], v[70:71], v[76:77]
	v_mul_f64 v[46:47], v[46:47], s[30:31]
	v_fma_f64 v[76:77], s[2:3], v[38:39], v[26:27]
	v_fma_f64 v[26:27], v[38:39], s[2:3], -v[26:27]
	v_add_f64 v[38:39], v[104:105], -v[42:43]
	v_add_f64 v[64:65], v[64:65], v[72:73]
	v_fma_f64 v[72:73], v[36:37], s[2:3], -v[46:47]
	v_fmac_f64_e32 v[46:47], s[2:3], v[36:37]
	v_add_f64 v[26:27], v[26:27], v[34:35]
	v_add_f64 v[34:35], v[60:61], v[24:25]
	v_add_f64 v[36:37], v[104:105], v[42:43]
	v_mul_f64 v[42:43], v[38:39], s[16:17]
	v_add_f64 v[32:33], v[46:47], v[32:33]
	v_add_f64 v[24:25], v[60:61], -v[24:25]
	v_fma_f64 v[46:47], v[34:35], s[14:15], -v[42:43]
	v_add_f64 v[30:31], v[46:47], v[30:31]
	v_mul_f64 v[46:47], v[24:25], s[16:17]
	v_fmac_f64_e32 v[42:43], s[14:15], v[34:35]
	v_add_f64 v[28:29], v[42:43], v[28:29]
	v_fma_f64 v[42:43], v[36:37], s[14:15], -v[46:47]
	v_add_f64 v[40:41], v[42:43], v[40:41]
	v_mul_f64 v[42:43], v[38:39], s[26:27]
	v_fma_f64 v[60:61], s[14:15], v[36:37], v[46:47]
	v_fma_f64 v[46:47], v[34:35], s[22:23], -v[42:43]
	v_add_f64 v[46:47], v[46:47], v[50:51]
	v_mul_f64 v[50:51], v[24:25], s[26:27]
	v_fmac_f64_e32 v[42:43], s[22:23], v[34:35]
	v_add_f64 v[44:45], v[60:61], v[44:45]
	v_fma_f64 v[60:61], s[22:23], v[36:37], v[50:51]
	v_add_f64 v[42:43], v[42:43], v[48:49]
	v_fma_f64 v[48:49], v[36:37], s[22:23], -v[50:51]
	v_mul_f64 v[50:51], v[38:39], s[34:35]
	v_add_f64 v[48:49], v[48:49], v[52:53]
	v_fma_f64 v[52:53], v[34:35], s[6:7], -v[50:51]
	v_add_f64 v[52:53], v[52:53], v[56:57]
	v_mul_f64 v[56:57], v[24:25], s[34:35]
	v_fmac_f64_e32 v[50:51], s[6:7], v[34:35]
	v_add_f64 v[58:59], v[60:61], v[58:59]
	v_fma_f64 v[60:61], s[6:7], v[36:37], v[56:57]
	v_add_f64 v[50:51], v[50:51], v[54:55]
	v_fma_f64 v[54:55], v[36:37], s[6:7], -v[56:57]
	v_mul_f64 v[56:57], v[38:39], s[0:1]
	v_add_f64 v[60:61], v[60:61], v[66:67]
	v_add_f64 v[54:55], v[54:55], v[62:63]
	v_fma_f64 v[62:63], v[34:35], s[2:3], -v[56:57]
	v_mul_f64 v[66:67], v[24:25], s[0:1]
	v_fmac_f64_e32 v[56:57], s[2:3], v[34:35]
	v_add_f64 v[56:57], v[56:57], v[64:65]
	v_fma_f64 v[64:65], v[36:37], s[2:3], -v[66:67]
	v_mul_f64 v[38:39], v[38:39], s[20:21]
	v_mul_f64 v[24:25], v[24:25], s[20:21]
	v_add_f64 v[62:63], v[62:63], v[68:69]
	v_fma_f64 v[68:69], s[2:3], v[36:37], v[66:67]
	v_add_f64 v[64:65], v[64:65], v[70:71]
	v_fma_f64 v[66:67], v[34:35], s[18:19], -v[38:39]
	v_fma_f64 v[70:71], s[18:19], v[36:37], v[24:25]
	v_fmac_f64_e32 v[38:39], s[18:19], v[34:35]
	v_fma_f64 v[24:25], v[36:37], s[18:19], -v[24:25]
	v_add_f64 v[34:35], v[12:13], v[14:15]
	v_add_f64 v[12:13], v[12:13], -v[14:15]
	v_add_f64 v[24:25], v[24:25], v[26:27]
	v_add_f64 v[26:27], v[16:17], v[18:19]
	v_mul_f64 v[14:15], v[12:13], s[20:21]
	v_add_f64 v[16:17], v[16:17], -v[18:19]
	v_fma_f64 v[18:19], v[26:27], s[18:19], -v[14:15]
	v_add_f64 v[18:19], v[18:19], v[30:31]
	v_mul_f64 v[30:31], v[16:17], s[20:21]
	v_fmac_f64_e32 v[14:15], s[18:19], v[26:27]
	v_fma_f64 v[36:37], s[18:19], v[34:35], v[30:31]
	v_add_f64 v[14:15], v[14:15], v[28:29]
	v_fma_f64 v[28:29], v[34:35], s[18:19], -v[30:31]
	v_mul_f64 v[30:31], v[12:13], s[28:29]
	v_add_f64 v[32:33], v[38:39], v[32:33]
	v_add_f64 v[28:29], v[28:29], v[40:41]
	v_fma_f64 v[38:39], v[26:27], s[14:15], -v[30:31]
	v_mul_f64 v[40:41], v[16:17], s[28:29]
	v_fmac_f64_e32 v[30:31], s[14:15], v[26:27]
	v_add_f64 v[36:37], v[36:37], v[44:45]
	v_fma_f64 v[44:45], s[14:15], v[34:35], v[40:41]
	v_add_f64 v[30:31], v[30:31], v[42:43]
	v_fma_f64 v[40:41], v[34:35], s[14:15], -v[40:41]
	v_mul_f64 v[42:43], v[12:13], s[0:1]
	v_add_f64 v[38:39], v[38:39], v[46:47]
	v_add_f64 v[40:41], v[40:41], v[48:49]
	v_fma_f64 v[46:47], v[26:27], s[2:3], -v[42:43]
	v_mul_f64 v[48:49], v[16:17], s[0:1]
	v_fmac_f64_e32 v[42:43], s[2:3], v[26:27]
	v_add_f64 v[46:47], v[46:47], v[52:53]
	v_fma_f64 v[52:53], s[2:3], v[34:35], v[48:49]
	v_add_f64 v[42:43], v[42:43], v[50:51]
	v_fma_f64 v[48:49], v[34:35], s[2:3], -v[48:49]
	v_mul_f64 v[50:51], v[12:13], s[24:25]
	v_add_f64 v[74:75], v[74:75], v[78:79]
	v_add_f64 v[72:73], v[72:73], v[80:81]
	;; [unrolled: 1-line block ×5, first 2 shown]
	v_fma_f64 v[54:55], v[26:27], s[22:23], -v[50:51]
	v_mul_f64 v[58:59], v[16:17], s[24:25]
	v_mul_f64 v[16:17], v[16:17], s[34:35]
	v_add_f64 v[68:69], v[68:69], v[74:75]
	v_add_f64 v[66:67], v[66:67], v[72:73]
	;; [unrolled: 1-line block ×5, first 2 shown]
	v_fma_f64 v[60:61], s[22:23], v[34:35], v[58:59]
	v_fma_f64 v[62:63], s[6:7], v[34:35], v[16:17]
	v_add_f64 v[72:73], v[8:9], -v[10:11]
	v_add_f64 v[74:75], v[4:5], -v[6:7]
	v_add_f64 v[60:61], v[60:61], v[68:69]
	v_fmac_f64_e32 v[50:51], s[22:23], v[26:27]
	v_mul_f64 v[12:13], v[12:13], s[34:35]
	v_add_f64 v[62:63], v[62:63], v[70:71]
	v_add_f64 v[68:69], v[8:9], v[10:11]
	;; [unrolled: 1-line block ×3, first 2 shown]
	v_mul_f64 v[8:9], v[74:75], s[24:25]
	v_mul_f64 v[10:11], v[72:73], s[24:25]
	v_add_f64 v[50:51], v[50:51], v[56:57]
	v_fma_f64 v[56:57], v[34:35], s[22:23], -v[58:59]
	v_fma_f64 v[58:59], v[26:27], s[6:7], -v[12:13]
	v_fmac_f64_e32 v[12:13], s[6:7], v[26:27]
	v_fma_f64 v[4:5], v[68:69], s[22:23], -v[8:9]
	v_fma_f64 v[6:7], s[22:23], v[70:71], v[10:11]
	v_fma_f64 v[10:11], v[70:71], s[22:23], -v[10:11]
	v_add_f64 v[56:57], v[56:57], v[64:65]
	v_add_f64 v[64:65], v[12:13], v[32:33]
	v_fma_f64 v[12:13], v[34:35], s[6:7], -v[16:17]
	v_add_f64 v[4:5], v[4:5], v[18:19]
	v_fmac_f64_e32 v[8:9], s[22:23], v[68:69]
	v_add_f64 v[10:11], v[10:11], v[28:29]
	v_mul_f64 v[16:17], v[74:75], s[30:31]
	v_mul_f64 v[18:19], v[72:73], s[30:31]
	v_mul_f64 v[28:29], v[74:75], s[20:21]
	v_add_f64 v[58:59], v[58:59], v[66:67]
	v_add_f64 v[66:67], v[12:13], v[24:25]
	;; [unrolled: 1-line block ×3, first 2 shown]
	v_fma_f64 v[12:13], v[68:69], s[2:3], -v[16:17]
	v_fma_f64 v[14:15], s[2:3], v[70:71], v[18:19]
	v_fmac_f64_e32 v[16:17], s[2:3], v[68:69]
	v_fma_f64 v[24:25], v[68:69], s[18:19], -v[28:29]
	v_add_f64 v[6:7], v[6:7], v[36:37]
	v_add_f64 v[12:13], v[12:13], v[38:39]
	;; [unrolled: 1-line block ×4, first 2 shown]
	v_fma_f64 v[18:19], v[70:71], s[2:3], -v[18:19]
	v_add_f64 v[24:25], v[24:25], v[46:47]
	v_mul_f64 v[30:31], v[72:73], s[20:21]
	v_fmac_f64_e32 v[28:29], s[18:19], v[68:69]
	v_mul_f64 v[36:37], v[74:75], s[34:35]
	v_mul_f64 v[38:39], v[72:73], s[34:35]
	;; [unrolled: 1-line block ×4, first 2 shown]
	v_add_f64 v[18:19], v[18:19], v[40:41]
	v_fma_f64 v[26:27], s[18:19], v[70:71], v[30:31]
	v_add_f64 v[28:29], v[28:29], v[42:43]
	v_fma_f64 v[30:31], v[70:71], s[18:19], -v[30:31]
	v_fma_f64 v[32:33], v[68:69], s[6:7], -v[36:37]
	v_fma_f64 v[34:35], s[6:7], v[70:71], v[38:39]
	v_fmac_f64_e32 v[36:37], s[6:7], v[68:69]
	v_fma_f64 v[38:39], v[70:71], s[6:7], -v[38:39]
	v_fma_f64 v[40:41], v[68:69], s[14:15], -v[44:45]
	v_fma_f64 v[42:43], s[14:15], v[70:71], v[46:47]
	v_fmac_f64_e32 v[44:45], s[14:15], v[68:69]
	v_fma_f64 v[46:47], v[70:71], s[14:15], -v[46:47]
	v_add_f64 v[26:27], v[26:27], v[52:53]
	v_add_f64 v[30:31], v[30:31], v[48:49]
	;; [unrolled: 1-line block ×10, first 2 shown]
	ds_write_b128 v21, v[0:3]
	ds_write_b128 v21, v[4:7] offset:208
	ds_write_b128 v21, v[12:15] offset:416
	;; [unrolled: 1-line block ×10, first 2 shown]
	s_waitcnt lgkmcnt(0)
	s_barrier
	s_and_saveexec_b64 s[36:37], vcc
	s_cbranch_execz .LBB0_17
; %bb.16:
	v_mul_u32_u24_e32 v0, 10, v139
	v_lshlrev_b32_e32 v0, 4, v0
	global_load_dwordx4 v[8:11], v0, s[4:5] offset:2144
	global_load_dwordx4 v[4:7], v0, s[4:5] offset:2160
	;; [unrolled: 1-line block ×10, first 2 shown]
	ds_read_b128 v[48:51], v20 offset:11440
	ds_read_b128 v[52:55], v20 offset:9152
	;; [unrolled: 1-line block ×8, first 2 shown]
	ds_read_b128 v[0:3], v20
	ds_read_b128 v[106:109], v20 offset:2288
	ds_read_b128 v[110:113], v20 offset:22880
	s_mov_b32 s5, 0x3fe82f19
	s_mov_b32 s4, s20
	s_waitcnt vmcnt(9) lgkmcnt(10)
	v_mul_f64 v[28:29], v[8:9], v[50:51]
	s_waitcnt vmcnt(8) lgkmcnt(8)
	v_mul_f64 v[30:31], v[4:5], v[80:81]
	v_mul_f64 v[26:27], v[6:7], v[80:81]
	s_waitcnt vmcnt(6) lgkmcnt(7)
	v_mul_f64 v[32:33], v[16:17], v[84:85]
	;; [unrolled: 3-line block ×3, first 2 shown]
	s_waitcnt vmcnt(4) lgkmcnt(4)
	v_mul_f64 v[36:37], v[56:57], v[100:101]
	v_mul_f64 v[80:81], v[24:25], v[92:93]
	s_waitcnt vmcnt(1) lgkmcnt(1)
	v_mul_f64 v[44:45], v[70:71], v[108:109]
	s_waitcnt vmcnt(0) lgkmcnt(0)
	v_mul_f64 v[46:47], v[74:75], v[112:113]
	v_mul_f64 v[84:85], v[58:59], v[100:101]
	;; [unrolled: 1-line block ×8, first 2 shown]
	v_fmac_f64_e32 v[44:45], v[72:73], v[106:107]
	v_fmac_f64_e32 v[46:47], v[76:77], v[110:111]
	v_mul_f64 v[34:35], v[12:13], v[54:55]
	v_mul_f64 v[54:55], v[14:15], v[54:55]
	v_fmac_f64_e32 v[36:37], v[58:59], v[98:99]
	v_fma_f64 v[56:57], v[98:99], v[56:57], -v[84:85]
	v_fmac_f64_e32 v[42:43], v[64:65], v[94:95]
	v_fmac_f64_e32 v[38:39], v[68:69], v[102:103]
	v_fma_f64 v[64:65], v[94:95], v[62:63], -v[86:87]
	v_fma_f64 v[58:59], v[102:103], v[66:67], -v[92:93]
	;; [unrolled: 1-line block ×4, first 2 shown]
	v_add_f64 v[98:99], v[44:45], v[46:47]
	v_fmac_f64_e32 v[34:35], v[14:15], v[52:53]
	v_fma_f64 v[54:55], v[52:53], v[12:13], -v[54:55]
	v_fma_f64 v[52:53], v[82:83], v[16:17], -v[60:61]
	v_fmac_f64_e32 v[40:41], v[24:25], v[90:91]
	v_add_f64 v[96:97], v[42:43], v[38:39]
	v_add_f64 v[76:77], v[66:67], -v[62:63]
	v_mul_f64 v[16:17], v[98:99], s[22:23]
	v_mul_f64 v[20:21], v[10:11], v[50:51]
	v_fmac_f64_e32 v[32:33], v[18:19], v[82:83]
	v_fma_f64 v[60:61], v[90:91], v[22:23], -v[80:81]
	v_add_f64 v[94:95], v[40:41], v[36:37]
	v_add_f64 v[74:75], v[64:65], -v[58:59]
	v_mul_f64 v[14:15], v[96:97], s[2:3]
	v_fma_f64 v[22:23], s[26:27], v[76:77], v[16:17]
	v_fmac_f64_e32 v[16:17], s[24:25], v[76:77]
	v_fmac_f64_e32 v[28:29], v[10:11], v[48:49]
	;; [unrolled: 1-line block ×3, first 2 shown]
	v_fma_f64 v[48:49], v[48:49], v[8:9], -v[20:21]
	v_add_f64 v[92:93], v[34:35], v[32:33]
	v_add_f64 v[72:73], v[60:61], -v[56:57]
	v_mul_f64 v[12:13], v[94:95], s[18:19]
	v_fma_f64 v[20:21], s[0:1], v[74:75], v[14:15]
	v_add_f64 v[22:23], v[2:3], v[22:23]
	v_add_f64 v[116:117], v[44:45], -v[46:47]
	v_fmac_f64_e32 v[14:15], s[30:31], v[74:75]
	v_add_f64 v[16:17], v[2:3], v[16:17]
	v_fma_f64 v[50:51], v[78:79], v[4:5], -v[26:27]
	v_add_f64 v[90:91], v[28:29], v[30:31]
	v_add_f64 v[70:71], v[54:55], -v[52:53]
	v_mul_f64 v[10:11], v[92:93], s[6:7]
	v_fma_f64 v[18:19], s[4:5], v[72:73], v[12:13]
	v_add_f64 v[20:21], v[20:21], v[22:23]
	v_add_f64 v[114:115], v[42:43], -v[38:39]
	v_add_f64 v[86:87], v[66:67], v[62:63]
	v_mul_f64 v[110:111], v[116:117], s[24:25]
	v_fmac_f64_e32 v[12:13], s[20:21], v[72:73]
	v_add_f64 v[14:15], v[14:15], v[16:17]
	v_add_f64 v[68:69], v[48:49], -v[50:51]
	v_add_f64 v[100:101], v[28:29], -v[30:31]
	v_mul_f64 v[8:9], v[90:91], s[14:15]
	v_fma_f64 v[6:7], s[12:13], v[70:71], v[10:11]
	v_add_f64 v[18:19], v[18:19], v[20:21]
	v_add_f64 v[104:105], v[40:41], -v[36:37]
	v_add_f64 v[84:85], v[64:65], v[58:59]
	v_mul_f64 v[106:107], v[114:115], s[30:31]
	v_fma_f64 v[112:113], s[22:23], v[86:87], v[110:111]
	v_fmac_f64_e32 v[10:11], s[34:35], v[70:71]
	v_add_f64 v[12:13], v[12:13], v[14:15]
	v_add_f64 v[78:79], v[48:49], v[50:51]
	v_fma_f64 v[4:5], s[28:29], v[68:69], v[8:9]
	v_add_f64 v[6:7], v[6:7], v[18:19]
	v_mul_f64 v[18:19], v[100:101], s[16:17]
	v_add_f64 v[102:103], v[34:35], -v[32:33]
	v_add_f64 v[82:83], v[60:61], v[56:57]
	v_mul_f64 v[24:25], v[104:105], s[20:21]
	v_fma_f64 v[108:109], s[2:3], v[84:85], v[106:107]
	v_add_f64 v[112:113], v[0:1], v[112:113]
	v_fmac_f64_e32 v[8:9], s[16:17], v[68:69]
	v_add_f64 v[10:11], v[10:11], v[12:13]
	v_add_f64 v[6:7], v[4:5], v[6:7]
	v_fma_f64 v[4:5], s[14:15], v[78:79], v[18:19]
	v_add_f64 v[80:81], v[54:55], v[52:53]
	v_mul_f64 v[20:21], v[102:103], s[34:35]
	v_fma_f64 v[26:27], s[18:19], v[82:83], v[24:25]
	v_add_f64 v[108:109], v[108:109], v[112:113]
	v_add_f64 v[10:11], v[8:9], v[10:11]
	v_fma_f64 v[8:9], v[78:79], s[14:15], -v[18:19]
	v_fma_f64 v[16:17], v[84:85], s[2:3], -v[106:107]
	v_fma_f64 v[18:19], v[86:87], s[22:23], -v[110:111]
	v_mul_f64 v[106:107], v[98:99], s[18:19]
	v_fma_f64 v[22:23], s[6:7], v[80:81], v[20:21]
	v_add_f64 v[26:27], v[26:27], v[108:109]
	v_fma_f64 v[14:15], v[82:83], s[18:19], -v[24:25]
	v_add_f64 v[18:19], v[0:1], v[18:19]
	v_mul_f64 v[24:25], v[96:97], s[14:15]
	v_fma_f64 v[108:109], s[4:5], v[76:77], v[106:107]
	v_mul_f64 v[122:123], v[116:117], s[20:21]
	v_add_f64 v[22:23], v[22:23], v[26:27]
	v_fma_f64 v[12:13], v[80:81], s[6:7], -v[20:21]
	v_add_f64 v[16:17], v[16:17], v[18:19]
	v_mul_f64 v[20:21], v[94:95], s[2:3]
	v_fma_f64 v[26:27], s[16:17], v[74:75], v[24:25]
	v_add_f64 v[108:109], v[2:3], v[108:109]
	v_mul_f64 v[118:119], v[114:115], s[28:29]
	v_fma_f64 v[124:125], s[18:19], v[86:87], v[122:123]
	v_add_f64 v[4:5], v[4:5], v[22:23]
	v_add_f64 v[14:15], v[14:15], v[16:17]
	v_mul_f64 v[18:19], v[92:93], s[22:23]
	v_fma_f64 v[22:23], s[30:31], v[72:73], v[20:21]
	v_add_f64 v[26:27], v[26:27], v[108:109]
	v_mul_f64 v[110:111], v[104:105], s[0:1]
	v_fma_f64 v[120:121], s[14:15], v[84:85], v[118:119]
	v_add_f64 v[124:125], v[0:1], v[124:125]
	;; [unrolled: 7-line block ×3, first 2 shown]
	v_add_f64 v[8:9], v[8:9], v[12:13]
	v_fma_f64 v[12:13], s[12:13], v[68:69], v[16:17]
	v_add_f64 v[14:15], v[14:15], v[22:23]
	v_mul_f64 v[26:27], v[100:101], s[34:35]
	v_fma_f64 v[22:23], s[22:23], v[80:81], v[108:109]
	v_add_f64 v[112:113], v[112:113], v[120:121]
	v_add_f64 v[14:15], v[12:13], v[14:15]
	v_fma_f64 v[12:13], s[6:7], v[78:79], v[26:27]
	v_add_f64 v[22:23], v[22:23], v[112:113]
	v_fmac_f64_e32 v[106:107], s[20:21], v[76:77]
	v_add_f64 v[12:13], v[12:13], v[22:23]
	v_fmac_f64_e32 v[24:25], s[28:29], v[74:75]
	;; [unrolled: 2-line block ×5, first 2 shown]
	v_add_f64 v[18:19], v[18:19], v[20:21]
	v_add_f64 v[22:23], v[16:17], v[18:19]
	v_fma_f64 v[16:17], v[78:79], s[6:7], -v[26:27]
	v_fma_f64 v[26:27], v[86:87], s[18:19], -v[122:123]
	;; [unrolled: 1-line block ×3, first 2 shown]
	v_add_f64 v[26:27], v[0:1], v[26:27]
	v_mul_f64 v[118:119], v[98:99], s[14:15]
	v_fma_f64 v[20:21], v[82:83], s[2:3], -v[110:111]
	v_add_f64 v[24:25], v[24:25], v[26:27]
	v_mul_f64 v[110:111], v[96:97], s[22:23]
	v_fma_f64 v[120:121], s[28:29], v[76:77], v[118:119]
	v_mul_f64 v[130:131], v[116:117], s[16:17]
	v_fma_f64 v[18:19], v[80:81], s[22:23], -v[108:109]
	v_add_f64 v[20:21], v[20:21], v[24:25]
	v_mul_f64 v[106:107], v[94:95], s[6:7]
	v_fma_f64 v[112:113], s[24:25], v[74:75], v[110:111]
	v_add_f64 v[120:121], v[2:3], v[120:121]
	v_mul_f64 v[126:127], v[114:115], s[26:27]
	v_fma_f64 v[132:133], s[14:15], v[86:87], v[130:131]
	;; [unrolled: 3-line block ×4, first 2 shown]
	v_add_f64 v[132:133], v[0:1], v[132:133]
	v_add_f64 v[20:21], v[16:17], v[18:19]
	v_mul_f64 v[24:25], v[90:91], s[18:19]
	v_fma_f64 v[18:19], s[30:31], v[70:71], v[26:27]
	v_add_f64 v[108:109], v[108:109], v[112:113]
	v_mul_f64 v[120:121], v[102:103], s[0:1]
	v_fma_f64 v[124:125], s[6:7], v[82:83], v[122:123]
	v_add_f64 v[128:129], v[128:129], v[132:133]
	v_fma_f64 v[16:17], s[4:5], v[68:69], v[24:25]
	v_add_f64 v[18:19], v[18:19], v[108:109]
	v_mul_f64 v[112:113], v[100:101], s[20:21]
	v_fma_f64 v[108:109], s[2:3], v[80:81], v[120:121]
	v_add_f64 v[124:125], v[124:125], v[128:129]
	v_add_f64 v[18:19], v[16:17], v[18:19]
	v_fma_f64 v[16:17], s[18:19], v[78:79], v[112:113]
	v_add_f64 v[108:109], v[108:109], v[124:125]
	v_fmac_f64_e32 v[118:119], s[16:17], v[76:77]
	v_add_f64 v[16:17], v[16:17], v[108:109]
	v_fmac_f64_e32 v[110:111], s[26:27], v[74:75]
	;; [unrolled: 2-line block ×5, first 2 shown]
	v_add_f64 v[26:27], v[26:27], v[106:107]
	v_add_f64 v[108:109], v[24:25], v[26:27]
	v_fma_f64 v[24:25], v[78:79], s[18:19], -v[112:113]
	v_fma_f64 v[112:113], v[86:87], s[14:15], -v[130:131]
	;; [unrolled: 1-line block ×3, first 2 shown]
	v_add_f64 v[112:113], v[0:1], v[112:113]
	v_mul_f64 v[126:127], v[98:99], s[6:7]
	v_fma_f64 v[106:107], v[82:83], s[6:7], -v[122:123]
	v_add_f64 v[110:111], v[110:111], v[112:113]
	v_mul_f64 v[122:123], v[96:97], s[18:19]
	v_fma_f64 v[128:129], s[34:35], v[76:77], v[126:127]
	v_fmac_f64_e32 v[126:127], s[12:13], v[76:77]
	v_fma_f64 v[26:27], v[80:81], s[2:3], -v[120:121]
	v_add_f64 v[106:107], v[106:107], v[110:111]
	v_mul_f64 v[118:119], v[94:95], s[22:23]
	v_fma_f64 v[124:125], s[4:5], v[74:75], v[122:123]
	v_add_f64 v[128:129], v[2:3], v[128:129]
	v_fmac_f64_e32 v[122:123], s[20:21], v[74:75]
	v_add_f64 v[126:127], v[2:3], v[126:127]
	v_add_f64 v[26:27], v[26:27], v[106:107]
	v_mul_f64 v[112:113], v[92:93], s[14:15]
	v_fma_f64 v[120:121], s[24:25], v[72:73], v[118:119]
	v_add_f64 v[124:125], v[124:125], v[128:129]
	v_fmac_f64_e32 v[118:119], s[26:27], v[72:73]
	v_add_f64 v[122:123], v[122:123], v[126:127]
	v_add_f64 v[106:107], v[24:25], v[26:27]
	v_fma_f64 v[26:27], s[16:17], v[70:71], v[112:113]
	v_add_f64 v[120:121], v[120:121], v[124:125]
	v_mul_f64 v[124:125], v[102:103], s[28:29]
	v_mul_f64 v[140:141], v[116:117], s[12:13]
	v_fmac_f64_e32 v[112:113], s[28:29], v[70:71]
	v_add_f64 v[118:119], v[118:119], v[122:123]
	v_mul_f64 v[110:111], v[90:91], s[2:3]
	v_fma_f64 v[128:129], s[14:15], v[80:81], v[124:125]
	v_mul_f64 v[134:135], v[114:115], s[20:21]
	v_add_f64 v[112:113], v[112:113], v[118:119]
	v_fma_f64 v[118:119], v[80:81], s[14:15], -v[124:125]
	v_fma_f64 v[124:125], v[86:87], s[6:7], -v[140:141]
	v_fma_f64 v[24:25], s[0:1], v[68:69], v[110:111]
	v_add_f64 v[26:27], v[26:27], v[120:121]
	v_mul_f64 v[120:121], v[100:101], s[30:31]
	v_mul_f64 v[130:131], v[104:105], s[26:27]
	v_fmac_f64_e32 v[110:111], s[30:31], v[68:69]
	v_fma_f64 v[122:123], v[84:85], s[18:19], -v[134:135]
	v_add_f64 v[124:125], v[0:1], v[124:125]
	v_add_f64 v[26:27], v[24:25], v[26:27]
	v_fma_f64 v[24:25], s[2:3], v[78:79], v[120:121]
	v_add_f64 v[112:113], v[110:111], v[112:113]
	v_fma_f64 v[110:111], v[78:79], s[2:3], -v[120:121]
	v_fma_f64 v[120:121], v[82:83], s[22:23], -v[130:131]
	v_add_f64 v[122:123], v[122:123], v[124:125]
	v_add_f64 v[120:121], v[120:121], v[122:123]
	v_add_f64 v[118:119], v[118:119], v[120:121]
	v_mul_f64 v[98:99], v[98:99], s[2:3]
	v_fma_f64 v[142:143], s[6:7], v[86:87], v[140:141]
	v_add_f64 v[110:111], v[110:111], v[118:119]
	v_mul_f64 v[118:119], v[90:91], s[22:23]
	v_mul_f64 v[96:97], v[96:97], s[6:7]
	v_fma_f64 v[126:127], s[30:31], v[76:77], v[98:99]
	v_fmac_f64_e32 v[98:99], s[0:1], v[76:77]
	v_fma_f64 v[136:137], s[18:19], v[84:85], v[134:135]
	v_add_f64 v[142:143], v[0:1], v[142:143]
	v_fma_f64 v[90:91], s[26:27], v[68:69], v[118:119]
	v_mul_f64 v[94:95], v[94:95], s[14:15]
	v_fma_f64 v[124:125], s[34:35], v[74:75], v[96:97]
	v_add_f64 v[126:127], v[2:3], v[126:127]
	v_fmac_f64_e32 v[118:119], s[24:25], v[68:69]
	v_fmac_f64_e32 v[96:97], s[12:13], v[74:75]
	v_add_f64 v[68:69], v[2:3], v[98:99]
	v_fma_f64 v[132:133], s[22:23], v[82:83], v[130:131]
	v_add_f64 v[136:137], v[136:137], v[142:143]
	v_mul_f64 v[120:121], v[92:93], s[18:19]
	v_fma_f64 v[122:123], s[28:29], v[72:73], v[94:95]
	v_add_f64 v[124:125], v[124:125], v[126:127]
	v_fmac_f64_e32 v[94:95], s[16:17], v[72:73]
	v_add_f64 v[68:69], v[96:97], v[68:69]
	v_add_f64 v[132:133], v[132:133], v[136:137]
	v_fma_f64 v[92:93], s[4:5], v[70:71], v[120:121]
	v_add_f64 v[122:123], v[122:123], v[124:125]
	v_fmac_f64_e32 v[120:121], s[20:21], v[70:71]
	v_add_f64 v[68:69], v[94:95], v[68:69]
	v_add_f64 v[128:129], v[128:129], v[132:133]
	;; [unrolled: 1-line block ×3, first 2 shown]
	v_mul_f64 v[100:101], v[100:101], s[24:25]
	v_mul_f64 v[116:117], v[116:117], s[0:1]
	v_add_f64 v[68:69], v[120:121], v[68:69]
	v_add_f64 v[24:25], v[24:25], v[128:129]
	;; [unrolled: 1-line block ×3, first 2 shown]
	v_fma_f64 v[90:91], s[22:23], v[78:79], v[100:101]
	v_fma_f64 v[128:129], s[2:3], v[86:87], v[116:117]
	v_add_f64 v[70:71], v[118:119], v[68:69]
	v_fma_f64 v[68:69], v[78:79], s[22:23], -v[100:101]
	v_fma_f64 v[78:79], v[86:87], s[2:3], -v[116:117]
	v_add_f64 v[128:129], v[0:1], v[128:129]
	v_add_f64 v[78:79], v[0:1], v[78:79]
	;; [unrolled: 1-line block ×14, first 2 shown]
	v_mad_u64_u32 v[28:29], s[0:1], s8, v138, 0
	v_add_f64 v[2:3], v[32:33], v[2:3]
	v_add_f64 v[0:1], v[52:53], v[0:1]
	v_mov_b32_e32 v30, v29
	v_add_f64 v[2:3], v[36:37], v[2:3]
	v_add_f64 v[0:1], v[56:57], v[0:1]
	v_mad_u64_u32 v[30:31], s[0:1], s9, v138, v[30:31]
	v_add_f64 v[2:3], v[38:39], v[2:3]
	v_add_f64 v[0:1], v[58:59], v[0:1]
	v_mov_b32_e32 v29, v30
	v_lshl_add_u64 v[30:31], v[88:89], 4, s[10:11]
	v_add_f64 v[2:3], v[46:47], v[2:3]
	v_add_f64 v[0:1], v[62:63], v[0:1]
	v_lshl_add_u64 v[28:29], v[28:29], 4, v[30:31]
	v_mul_f64 v[114:115], v[114:115], s[12:13]
	global_store_dwordx4 v[28:29], v[0:3], off
	v_mul_f64 v[104:105], v[104:105], s[16:17]
	v_fma_f64 v[76:77], v[84:85], s[6:7], -v[114:115]
	v_add_u32_e32 v3, 0x8f, v138
	v_mad_u64_u32 v[0:1], s[0:1], s8, v3, 0
	v_mul_f64 v[102:103], v[102:103], s[20:21]
	v_fma_f64 v[74:75], v[82:83], s[14:15], -v[104:105]
	v_add_f64 v[76:77], v[76:77], v[78:79]
	v_mov_b32_e32 v2, v1
	v_fma_f64 v[72:73], v[80:81], s[18:19], -v[102:103]
	v_add_f64 v[74:75], v[74:75], v[76:77]
	v_mad_u64_u32 v[2:3], s[0:1], s9, v3, v[2:3]
	v_add_f64 v[72:73], v[72:73], v[74:75]
	v_mov_b32_e32 v1, v2
	v_add_f64 v[68:69], v[68:69], v[72:73]
	v_lshl_add_u64 v[0:1], v[0:1], 4, v[30:31]
	v_add_u32_e32 v3, 0x11e, v138
	global_store_dwordx4 v[0:1], v[68:71], off
	v_mad_u64_u32 v[0:1], s[0:1], s8, v3, 0
	v_mov_b32_e32 v2, v1
	v_mad_u64_u32 v[2:3], s[0:1], s9, v3, v[2:3]
	v_mov_b32_e32 v1, v2
	v_lshl_add_u64 v[0:1], v[0:1], 4, v[30:31]
	v_add_u32_e32 v3, 0x1ad, v138
	global_store_dwordx4 v[0:1], v[110:113], off
	v_mad_u64_u32 v[0:1], s[0:1], s8, v3, 0
	v_mov_b32_e32 v2, v1
	v_mad_u64_u32 v[2:3], s[0:1], s9, v3, v[2:3]
	v_mov_b32_e32 v1, v2
	;; [unrolled: 7-line block ×8, first 2 shown]
	v_lshl_add_u64 v[0:1], v[0:1], 4, v[30:31]
	v_add_u32_e32 v3, 0x596, v138
	v_fma_f64 v[126:127], s[6:7], v[84:85], v[114:115]
	global_store_dwordx4 v[0:1], v[24:27], off
	v_mad_u64_u32 v[0:1], s[0:1], s8, v3, 0
	v_fma_f64 v[124:125], s[14:15], v[82:83], v[104:105]
	v_add_f64 v[126:127], v[126:127], v[128:129]
	v_mov_b32_e32 v2, v1
	v_fma_f64 v[122:123], s[18:19], v[80:81], v[102:103]
	v_add_f64 v[124:125], v[124:125], v[126:127]
	v_mad_u64_u32 v[2:3], s[0:1], s9, v3, v[2:3]
	v_add_f64 v[122:123], v[122:123], v[124:125]
	v_mov_b32_e32 v1, v2
	v_add_f64 v[90:91], v[90:91], v[122:123]
	v_lshl_add_u64 v[0:1], v[0:1], 4, v[30:31]
	global_store_dwordx4 v[0:1], v[90:93], off
.LBB0_17:
	s_endpgm
	.section	.rodata,"a",@progbits
	.p2align	6, 0x0
	.amdhsa_kernel fft_rtc_fwd_len1573_factors_13_11_11_wgs_143_tpt_143_dp_ip_CI_sbrr_dirReg
		.amdhsa_group_segment_fixed_size 0
		.amdhsa_private_segment_fixed_size 0
		.amdhsa_kernarg_size 88
		.amdhsa_user_sgpr_count 2
		.amdhsa_user_sgpr_dispatch_ptr 0
		.amdhsa_user_sgpr_queue_ptr 0
		.amdhsa_user_sgpr_kernarg_segment_ptr 1
		.amdhsa_user_sgpr_dispatch_id 0
		.amdhsa_user_sgpr_kernarg_preload_length 0
		.amdhsa_user_sgpr_kernarg_preload_offset 0
		.amdhsa_user_sgpr_private_segment_size 0
		.amdhsa_uses_dynamic_stack 0
		.amdhsa_enable_private_segment 0
		.amdhsa_system_sgpr_workgroup_id_x 1
		.amdhsa_system_sgpr_workgroup_id_y 0
		.amdhsa_system_sgpr_workgroup_id_z 0
		.amdhsa_system_sgpr_workgroup_info 0
		.amdhsa_system_vgpr_workitem_id 0
		.amdhsa_next_free_vgpr 166
		.amdhsa_next_free_sgpr 42
		.amdhsa_accum_offset 168
		.amdhsa_reserve_vcc 1
		.amdhsa_float_round_mode_32 0
		.amdhsa_float_round_mode_16_64 0
		.amdhsa_float_denorm_mode_32 3
		.amdhsa_float_denorm_mode_16_64 3
		.amdhsa_dx10_clamp 1
		.amdhsa_ieee_mode 1
		.amdhsa_fp16_overflow 0
		.amdhsa_tg_split 0
		.amdhsa_exception_fp_ieee_invalid_op 0
		.amdhsa_exception_fp_denorm_src 0
		.amdhsa_exception_fp_ieee_div_zero 0
		.amdhsa_exception_fp_ieee_overflow 0
		.amdhsa_exception_fp_ieee_underflow 0
		.amdhsa_exception_fp_ieee_inexact 0
		.amdhsa_exception_int_div_zero 0
	.end_amdhsa_kernel
	.text
.Lfunc_end0:
	.size	fft_rtc_fwd_len1573_factors_13_11_11_wgs_143_tpt_143_dp_ip_CI_sbrr_dirReg, .Lfunc_end0-fft_rtc_fwd_len1573_factors_13_11_11_wgs_143_tpt_143_dp_ip_CI_sbrr_dirReg
                                        ; -- End function
	.section	.AMDGPU.csdata,"",@progbits
; Kernel info:
; codeLenInByte = 11740
; NumSgprs: 48
; NumVgprs: 166
; NumAgprs: 0
; TotalNumVgprs: 166
; ScratchSize: 0
; MemoryBound: 1
; FloatMode: 240
; IeeeMode: 1
; LDSByteSize: 0 bytes/workgroup (compile time only)
; SGPRBlocks: 5
; VGPRBlocks: 20
; NumSGPRsForWavesPerEU: 48
; NumVGPRsForWavesPerEU: 166
; AccumOffset: 168
; Occupancy: 3
; WaveLimiterHint : 1
; COMPUTE_PGM_RSRC2:SCRATCH_EN: 0
; COMPUTE_PGM_RSRC2:USER_SGPR: 2
; COMPUTE_PGM_RSRC2:TRAP_HANDLER: 0
; COMPUTE_PGM_RSRC2:TGID_X_EN: 1
; COMPUTE_PGM_RSRC2:TGID_Y_EN: 0
; COMPUTE_PGM_RSRC2:TGID_Z_EN: 0
; COMPUTE_PGM_RSRC2:TIDIG_COMP_CNT: 0
; COMPUTE_PGM_RSRC3_GFX90A:ACCUM_OFFSET: 41
; COMPUTE_PGM_RSRC3_GFX90A:TG_SPLIT: 0
	.text
	.p2alignl 6, 3212836864
	.fill 256, 4, 3212836864
	.type	__hip_cuid_f40f531747769ce3,@object ; @__hip_cuid_f40f531747769ce3
	.section	.bss,"aw",@nobits
	.globl	__hip_cuid_f40f531747769ce3
__hip_cuid_f40f531747769ce3:
	.byte	0                               ; 0x0
	.size	__hip_cuid_f40f531747769ce3, 1

	.ident	"AMD clang version 19.0.0git (https://github.com/RadeonOpenCompute/llvm-project roc-6.4.0 25133 c7fe45cf4b819c5991fe208aaa96edf142730f1d)"
	.section	".note.GNU-stack","",@progbits
	.addrsig
	.addrsig_sym __hip_cuid_f40f531747769ce3
	.amdgpu_metadata
---
amdhsa.kernels:
  - .agpr_count:     0
    .args:
      - .actual_access:  read_only
        .address_space:  global
        .offset:         0
        .size:           8
        .value_kind:     global_buffer
      - .offset:         8
        .size:           8
        .value_kind:     by_value
      - .actual_access:  read_only
        .address_space:  global
        .offset:         16
        .size:           8
        .value_kind:     global_buffer
      - .actual_access:  read_only
        .address_space:  global
        .offset:         24
        .size:           8
        .value_kind:     global_buffer
      - .offset:         32
        .size:           8
        .value_kind:     by_value
      - .actual_access:  read_only
        .address_space:  global
        .offset:         40
        .size:           8
        .value_kind:     global_buffer
      - .actual_access:  read_only
        .address_space:  global
        .offset:         48
        .size:           8
        .value_kind:     global_buffer
      - .offset:         56
        .size:           4
        .value_kind:     by_value
      - .actual_access:  read_only
        .address_space:  global
        .offset:         64
        .size:           8
        .value_kind:     global_buffer
      - .actual_access:  read_only
        .address_space:  global
        .offset:         72
        .size:           8
        .value_kind:     global_buffer
      - .address_space:  global
        .offset:         80
        .size:           8
        .value_kind:     global_buffer
    .group_segment_fixed_size: 0
    .kernarg_segment_align: 8
    .kernarg_segment_size: 88
    .language:       OpenCL C
    .language_version:
      - 2
      - 0
    .max_flat_workgroup_size: 143
    .name:           fft_rtc_fwd_len1573_factors_13_11_11_wgs_143_tpt_143_dp_ip_CI_sbrr_dirReg
    .private_segment_fixed_size: 0
    .sgpr_count:     48
    .sgpr_spill_count: 0
    .symbol:         fft_rtc_fwd_len1573_factors_13_11_11_wgs_143_tpt_143_dp_ip_CI_sbrr_dirReg.kd
    .uniform_work_group_size: 1
    .uses_dynamic_stack: false
    .vgpr_count:     166
    .vgpr_spill_count: 0
    .wavefront_size: 64
amdhsa.target:   amdgcn-amd-amdhsa--gfx950
amdhsa.version:
  - 1
  - 2
...

	.end_amdgpu_metadata
